;; amdgpu-corpus repo=ROCm/rocFFT kind=compiled arch=gfx1100 opt=O3
	.text
	.amdgcn_target "amdgcn-amd-amdhsa--gfx1100"
	.amdhsa_code_object_version 6
	.protected	bluestein_single_back_len1925_dim1_sp_op_CI_CI ; -- Begin function bluestein_single_back_len1925_dim1_sp_op_CI_CI
	.globl	bluestein_single_back_len1925_dim1_sp_op_CI_CI
	.p2align	8
	.type	bluestein_single_back_len1925_dim1_sp_op_CI_CI,@function
bluestein_single_back_len1925_dim1_sp_op_CI_CI: ; @bluestein_single_back_len1925_dim1_sp_op_CI_CI
; %bb.0:
	s_load_b128 s[16:19], s[0:1], 0x28
	v_mul_u32_u24_e32 v1, 0x4a8, v0
	s_mov_b32 s2, exec_lo
	v_mov_b32_e32 v13, 0
	s_delay_alu instid0(VALU_DEP_2) | instskip(NEXT) | instid1(VALU_DEP_1)
	v_lshrrev_b32_e32 v1, 16, v1
	v_add_nc_u32_e32 v12, s15, v1
	s_waitcnt lgkmcnt(0)
	s_delay_alu instid0(VALU_DEP_1)
	v_cmpx_gt_u64_e64 s[16:17], v[12:13]
	s_cbranch_execz .LBB0_10
; %bb.1:
	s_clause 0x1
	s_load_b128 s[4:7], s[0:1], 0x18
	s_load_b128 s[8:11], s[0:1], 0x0
	v_mul_lo_u16 v1, v1, 55
	v_mov_b32_e32 v10, v12
	s_delay_alu instid0(VALU_DEP_2) | instskip(NEXT) | instid1(VALU_DEP_1)
	v_sub_nc_u16 v16, v0, v1
	v_and_b32_e32 v111, 0xffff, v16
	s_delay_alu instid0(VALU_DEP_1)
	v_add_co_u32 v223, null, 0xa5, v111
	s_waitcnt lgkmcnt(0)
	s_load_b128 s[12:15], s[4:5], 0x0
	s_waitcnt lgkmcnt(0)
	v_mad_u64_u32 v[8:9], null, s12, v111, 0
	v_lshlrev_b32_e32 v112, 3, v111
	v_mad_u64_u32 v[4:5], null, s14, v12, 0
	s_clause 0x7
	global_load_b64 v[138:139], v112, s[8:9] offset:2200
	global_load_b64 v[132:133], v112, s[8:9] offset:2640
	;; [unrolled: 1-line block ×3, first 2 shown]
	global_load_b64 v[150:151], v112, s[8:9]
	global_load_b64 v[136:137], v112, s[8:9] offset:440
	global_load_b64 v[120:121], v112, s[8:9] offset:880
	;; [unrolled: 1-line block ×4, first 2 shown]
	v_add_co_u32 v6, s2, s8, v112
	s_delay_alu instid0(VALU_DEP_1) | instskip(SKIP_1) | instid1(VALU_DEP_2)
	v_add_co_ci_u32_e64 v7, null, s9, 0, s2
	s_mul_i32 s2, s13, 0x898
	v_add_co_u32 v0, vcc_lo, 0x1000, v6
	s_delay_alu instid0(VALU_DEP_2)
	v_add_co_ci_u32_e32 v1, vcc_lo, 0, v7, vcc_lo
	v_add_co_u32 v2, vcc_lo, 0x2000, v6
	v_add_co_ci_u32_e32 v3, vcc_lo, 0, v7, vcc_lo
	v_add_co_u32 v6, vcc_lo, 0x3000, v6
	v_add_co_ci_u32_e32 v7, vcc_lo, 0, v7, vcc_lo
	s_clause 0x6
	global_load_b64 v[152:153], v[2:3], off offset:2808
	global_load_b64 v[140:141], v[2:3], off offset:3248
	;; [unrolled: 1-line block ×7, first 2 shown]
	scratch_store_b64 off, v[10:11], off offset:244 ; 8-byte Folded Spill
	v_mad_u64_u32 v[10:11], null, s15, v12, v[5:6]
	v_mov_b32_e32 v5, v9
	s_mul_hi_u32 s3, s12, 0x898
	s_mul_i32 s4, s12, 0x898
	s_add_i32 s3, s3, s2
	s_mul_hi_u32 s5, s12, 0xffffce28
	v_mad_u64_u32 v[11:12], null, s13, v111, v[5:6]
	s_delay_alu instid0(VALU_DEP_3)
	v_mov_b32_e32 v5, v10
	s_mul_i32 s2, s13, 0xffffce28
	s_mul_i32 s13, s12, 0xffffce28
	s_sub_i32 s5, s5, s12
	s_clause 0x3
	global_load_b64 v[156:157], v[2:3], off offset:608
	global_load_b64 v[142:143], v[2:3], off offset:1048
	;; [unrolled: 1-line block ×4, first 2 shown]
	v_lshlrev_b64 v[4:5], 3, v[4:5]
	v_mov_b32_e32 v9, v11
	s_add_i32 s5, s5, s2
	s_clause 0x8
	global_load_b64 v[158:159], v[0:1], off offset:304
	global_load_b64 v[146:147], v[0:1], off offset:744
	;; [unrolled: 1-line block ×9, first 2 shown]
	v_lshlrev_b64 v[8:9], 3, v[8:9]
	v_add_co_u32 v4, vcc_lo, s18, v4
	v_add_co_ci_u32_e32 v5, vcc_lo, s19, v5, vcc_lo
	s_delay_alu instid0(VALU_DEP_2) | instskip(NEXT) | instid1(VALU_DEP_2)
	v_add_co_u32 v4, vcc_lo, v4, v8
	v_add_co_ci_u32_e32 v5, vcc_lo, v5, v9, vcc_lo
	s_delay_alu instid0(VALU_DEP_2) | instskip(NEXT) | instid1(VALU_DEP_2)
	;; [unrolled: 3-line block ×4, first 2 shown]
	v_add_co_u32 v12, vcc_lo, v10, s4
	v_add_co_ci_u32_e32 v13, vcc_lo, s3, v11, vcc_lo
	s_clause 0x2
	global_load_b64 v[4:5], v[4:5], off
	global_load_b64 v[8:9], v[8:9], off
	;; [unrolled: 1-line block ×3, first 2 shown]
	v_add_co_u32 v14, vcc_lo, v12, s4
	v_add_co_ci_u32_e32 v15, vcc_lo, s3, v13, vcc_lo
	s_delay_alu instid0(VALU_DEP_2) | instskip(NEXT) | instid1(VALU_DEP_2)
	v_add_co_u32 v17, vcc_lo, v14, s4
	v_add_co_ci_u32_e32 v18, vcc_lo, s3, v15, vcc_lo
	s_clause 0x1
	global_load_b64 v[25:26], v[12:13], off
	global_load_b64 v[14:15], v[14:15], off
	v_add_co_u32 v19, vcc_lo, v17, s4
	v_add_co_ci_u32_e32 v20, vcc_lo, s3, v18, vcc_lo
	global_load_b64 v[27:28], v[17:18], off
	v_add_co_u32 v21, vcc_lo, v19, s13
	v_add_co_ci_u32_e32 v22, vcc_lo, s5, v20, vcc_lo
	;; [unrolled: 3-line block ×20, first 2 shown]
	s_delay_alu instid0(VALU_DEP_2) | instskip(NEXT) | instid1(VALU_DEP_2)
	v_add_co_u32 v19, vcc_lo, v17, s4
	v_add_co_ci_u32_e32 v20, vcc_lo, s3, v18, vcc_lo
	s_delay_alu instid0(VALU_DEP_2) | instskip(NEXT) | instid1(VALU_DEP_2)
	v_add_co_u32 v21, vcc_lo, v19, s4
	v_add_co_ci_u32_e32 v22, vcc_lo, s3, v20, vcc_lo
	;; [unrolled: 3-line block ×3, first 2 shown]
	global_load_b64 v[65:66], v[12:13], off
	global_load_b64 v[67:68], v[17:18], off
	;; [unrolled: 1-line block ×5, first 2 shown]
	v_add_co_u32 v12, vcc_lo, v63, s4
	v_add_co_ci_u32_e32 v13, vcc_lo, s3, v64, vcc_lo
	s_clause 0x1
	global_load_b64 v[109:110], v112, s[8:9] offset:1760
	global_load_b64 v[116:117], v112, s[8:9] offset:3960
	v_add_co_u32 v17, vcc_lo, v12, s4
	v_add_co_ci_u32_e32 v18, vcc_lo, s3, v13, vcc_lo
	global_load_b64 v[63:64], v[12:13], off
	v_add_co_u32 v12, vcc_lo, v17, s4
	v_add_co_ci_u32_e32 v13, vcc_lo, s3, v18, vcc_lo
	v_add_nc_u32_e32 v21, 0x2400, v112
	s_delay_alu instid0(VALU_DEP_3) | instskip(NEXT) | instid1(VALU_DEP_3)
	v_add_co_u32 v19, vcc_lo, v12, s4
	v_add_co_ci_u32_e32 v20, vcc_lo, s3, v13, vcc_lo
	global_load_b64 v[75:76], v[17:18], off
	global_load_b64 v[97:98], v[0:1], off offset:2064
	global_load_b64 v[0:1], v[12:13], off
	global_load_b64 v[99:100], v[2:3], off offset:168
	global_load_b64 v[77:78], v[19:20], off
	v_add_co_u32 v12, vcc_lo, v19, s4
	v_add_co_ci_u32_e32 v13, vcc_lo, s3, v20, vcc_lo
	global_load_b64 v[95:96], v[2:3], off offset:2368
	v_add_co_u32 v2, vcc_lo, v12, s4
	v_add_co_ci_u32_e32 v3, vcc_lo, s3, v13, vcc_lo
	global_load_b64 v[79:80], v[12:13], off
	s_clause 0x1
	global_load_b64 v[103:104], v[6:7], off offset:472
	global_load_b64 v[105:106], v[6:7], off offset:2672
	global_load_b64 v[2:3], v[2:3], off
	s_load_b64 s[2:3], s[0:1], 0x38
	v_add_co_u32 v211, s0, v111, 55
	s_delay_alu instid0(VALU_DEP_1) | instskip(SKIP_1) | instid1(VALU_DEP_1)
	v_add_co_ci_u32_e64 v113, null, 0, 0, s0
	v_add_co_u32 v210, s0, 0x6e, v111
	v_add_co_ci_u32_e64 v6, null, 0, 0, s0
	v_add_nc_u32_e32 v13, 0x800, v112
	v_add_nc_u32_e32 v18, 0x2800, v112
	;; [unrolled: 1-line block ×5, first 2 shown]
	s_load_b128 s[4:7], s[6:7], 0x0
	v_add_nc_u32_e32 v22, 0x1800, v112
	v_add_nc_u32_e32 v12, 0x2000, v112
	v_add_co_u32 v224, s0, 0xdc, v111
	v_cmp_gt_u16_e32 vcc_lo, 10, v16
	s_waitcnt vmcnt(62)
	s_clause 0x1
	scratch_store_b64 off, v[138:139], off offset:276
	scratch_store_b64 off, v[150:151], off offset:324
	s_waitcnt vmcnt(57)
	scratch_store_b64 off, v[154:155], off offset:340 ; 8-byte Folded Spill
	s_waitcnt vmcnt(54)
	scratch_store_b64 off, v[156:157], off offset:348 ; 8-byte Folded Spill
	;; [unrolled: 2-line block ×3, first 2 shown]
	s_waitcnt vmcnt(41)
	v_mul_f32_e32 v6, v5, v151
	v_mul_f32_e32 v7, v4, v151
	s_waitcnt vmcnt(40)
	v_mul_f32_e32 v81, v9, v139
	v_dual_mul_f32 v82, v8, v139 :: v_dual_add_nc_u32 v83, 0x1400, v112
	v_fmac_f32_e32 v6, v4, v150
	s_waitcnt vmcnt(39)
	v_mul_f32_e32 v4, v11, v159
	v_fma_f32 v7, v5, v150, -v7
	v_dual_mul_f32 v5, v10, v159 :: v_dual_add_nc_u32 v84, 0x1c00, v112
	v_fmac_f32_e32 v81, v8, v138
	v_fma_f32 v82, v9, v138, -v82
	s_waitcnt vmcnt(38)
	v_mul_f32_e32 v8, v26, v155
	s_waitcnt vmcnt(37)
	v_dual_mul_f32 v9, v25, v155 :: v_dual_mul_f32 v86, v14, v157
	v_dual_fmac_f32 v4, v10, v158 :: v_dual_add_nc_u32 v85, 0x3800, v112
	v_mul_f32_e32 v10, v15, v157
	v_fma_f32 v5, v11, v158, -v5
	v_fmac_f32_e32 v8, v25, v154
	v_fma_f32 v9, v26, v154, -v9
	v_fma_f32 v11, v15, v156, -v86
	s_waitcnt vmcnt(36)
	v_dual_mul_f32 v15, v27, v153 :: v_dual_fmac_f32 v10, v14, v156
	v_mul_f32_e32 v14, v28, v153
	ds_store_b64 v112, v[81:82] offset:2200
	ds_store_b64 v112, v[4:5] offset:4400
	;; [unrolled: 1-line block ×4, first 2 shown]
	s_waitcnt vmcnt(35)
	v_mul_f32_e32 v4, v30, v149
	v_mul_f32_e32 v5, v29, v149
	s_waitcnt vmcnt(34)
	v_mul_f32_e32 v8, v32, v137
	v_fmac_f32_e32 v14, v27, v152
	v_dual_mul_f32 v9, v31, v137 :: v_dual_fmac_f32 v4, v29, v148
	v_fma_f32 v15, v28, v152, -v15
	s_waitcnt vmcnt(33)
	v_mul_f32_e32 v10, v24, v133
	v_fma_f32 v5, v30, v148, -v5
	s_clause 0x2
	scratch_store_b64 off, v[152:153], off offset:332
	scratch_store_b64 off, v[148:149], off offset:316
	;; [unrolled: 1-line block ×3, first 2 shown]
	v_fma_f32 v9, v32, v136, -v9
	ds_store_b64 v112, v[14:15] offset:11000
	ds_store_b64 v112, v[4:5] offset:13200
	s_waitcnt vmcnt(32)
	v_dual_mul_f32 v5, v23, v133 :: v_dual_mul_f32 v4, v36, v147
	v_fmac_f32_e32 v10, v23, v132
	s_clause 0x1
	scratch_store_b64 off, v[132:133], off offset:252
	scratch_store_b64 off, v[134:135], off offset:260
	v_fma_f32 v11, v24, v132, -v5
	v_fmac_f32_e32 v4, v35, v146
	s_waitcnt vmcnt(30)
	v_mul_f32_e32 v15, v39, v143
	s_clause 0x3
	scratch_store_b64 off, v[146:147], off offset:308
	scratch_store_b64 off, v[144:145], off offset:300
	;; [unrolled: 1-line block ×4, first 2 shown]
	s_waitcnt vmcnt(29)
	v_mul_f32_e32 v14, v42, v141
	s_clause 0x3
	scratch_store_b64 off, v[120:121], off offset:196
	scratch_store_b64 off, v[122:123], off offset:204
	;; [unrolled: 1-line block ×4, first 2 shown]
	s_waitcnt vmcnt(28)
	v_dual_mul_f32 v23, v34, v135 :: v_dual_fmac_f32 v8, v31, v136
	s_clause 0x2
	scratch_store_b64 off, v[126:127], off offset:220
	scratch_store_b64 off, v[128:129], off offset:228
	;; [unrolled: 1-line block ×3, first 2 shown]
	s_waitcnt vmcnt(27)
	v_mul_f32_e32 v25, v46, v121
	ds_store_2addr_b64 v112, v[6:7], v[8:9] offset1:55
	v_dual_mul_f32 v7, v35, v147 :: v_dual_mul_f32 v6, v38, v145
	v_mul_f32_e32 v9, v37, v145
	v_fmac_f32_e32 v25, v45, v120
	s_waitcnt vmcnt(26)
	v_mul_f32_e32 v27, v48, v119
	v_mul_f32_e32 v28, v47, v119
	v_fma_f32 v5, v36, v146, -v7
	s_waitcnt vmcnt(25)
	v_dual_fmac_f32 v6, v37, v144 :: v_dual_mul_f32 v29, v50, v131
	v_dual_fmac_f32 v27, v47, v118 :: v_dual_mul_f32 v30, v49, v131
	v_mul_f32_e32 v8, v40, v143
	v_fma_f32 v28, v48, v118, -v28
	s_delay_alu instid0(VALU_DEP_4)
	v_fmac_f32_e32 v29, v49, v130
	s_waitcnt vmcnt(24)
	v_mul_f32_e32 v31, v52, v127
	v_mul_f32_e32 v32, v51, v127
	v_fma_f32 v30, v50, v130, -v30
	v_fma_f32 v7, v38, v144, -v9
	s_delay_alu instid0(VALU_DEP_4)
	v_dual_mul_f32 v24, v41, v141 :: v_dual_fmac_f32 v31, v51, v126
	v_fmac_f32_e32 v14, v41, v140
	ds_store_2addr_b64 v13, v[10:11], v[27:28] offset0:74 offset1:129
	v_fma_f32 v32, v52, v126, -v32
	s_waitcnt vmcnt(23)
	v_mul_f32_e32 v10, v44, v129
	ds_store_2addr_b64 v17, v[4:5], v[29:30] offset0:93 offset1:148
	v_mul_f32_e32 v5, v43, v129
	v_fmac_f32_e32 v8, v39, v142
	v_fma_f32 v9, v40, v142, -v15
	v_fma_f32 v15, v42, v140, -v24
	v_mul_f32_e32 v24, v33, v135
	v_mul_f32_e32 v26, v45, v121
	s_waitcnt vmcnt(22)
	v_mul_f32_e32 v4, v56, v125
	ds_store_2addr_b64 v22, v[6:7], v[31:32] offset0:112 offset1:167
	v_fmac_f32_e32 v10, v43, v128
	v_mul_f32_e32 v7, v55, v125
	v_fma_f32 v11, v44, v128, -v5
	s_waitcnt vmcnt(20)
	v_dual_mul_f32 v28, v57, v123 :: v_dual_mul_f32 v27, v60, v102
	v_dual_mul_f32 v29, v59, v102 :: v_dual_mul_f32 v6, v58, v123
	v_fma_f32 v26, v46, v120, -v26
	v_fma_f32 v5, v56, v124, -v7
	s_delay_alu instid0(VALU_DEP_4)
	v_fmac_f32_e32 v27, v59, v101
	v_fma_f32 v7, v58, v122, -v28
	ds_store_2addr_b64 v12, v[8:9], v[10:11] offset0:131 offset1:186
	v_fma_f32 v28, v60, v101, -v29
	v_fmac_f32_e32 v23, v33, v134
	v_fma_f32 v24, v34, v134, -v24
	v_fmac_f32_e32 v6, v57, v122
	scratch_store_b64 off, v[124:125], off offset:212 ; 8-byte Folded Spill
	s_waitcnt vmcnt(17)
	v_mul_f32_e32 v9, v65, v94
	s_waitcnt vmcnt(16)
	v_mul_f32_e32 v11, v67, v90
	v_fmac_f32_e32 v4, v55, v124
	s_waitcnt vmcnt(14)
	v_mul_f32_e32 v29, v71, v88
	ds_store_2addr_b64 v18, v[14:15], v[4:5] offset0:150 offset1:205
	ds_store_2addr_b64 v20, v[23:24], v[6:7] offset0:169 offset1:224
	v_mul_f32_e32 v5, v61, v108
	ds_store_2addr_b64 v112, v[25:26], v[27:28] offset0:110 offset1:165
	s_waitcnt vmcnt(12)
	v_mul_f32_e32 v25, v74, v110
	v_mul_f32_e32 v4, v62, v108
	;; [unrolled: 1-line block ×3, first 2 shown]
	v_fma_f32 v5, v62, v107, -v5
	v_mul_f32_e32 v23, v72, v88
	s_waitcnt vmcnt(10)
	v_mul_f32_e32 v27, v64, v117
	v_mul_f32_e32 v28, v63, v117
	v_dual_mul_f32 v6, v54, v115 :: v_dual_fmac_f32 v25, v73, v109
	v_fmac_f32_e32 v4, v61, v107
	v_fma_f32 v26, v74, v109, -v24
	v_dual_fmac_f32 v27, v63, v116 :: v_dual_mul_f32 v8, v66, v94
	s_delay_alu instid0(VALU_DEP_4)
	v_dual_fmac_f32 v23, v71, v87 :: v_dual_fmac_f32 v6, v53, v114
	ds_store_b64 v112, v[25:26] offset:1760
	s_waitcnt vmcnt(8)
	v_mul_f32_e32 v25, v76, v98
	v_mul_f32_e32 v10, v68, v90
	v_fmac_f32_e32 v8, v65, v93
	v_dual_mul_f32 v7, v53, v115 :: v_dual_mul_f32 v26, v75, v98
	s_delay_alu instid0(VALU_DEP_4) | instskip(NEXT) | instid1(VALU_DEP_4)
	v_fmac_f32_e32 v25, v75, v97
	v_dual_fmac_f32 v10, v67, v89 :: v_dual_mul_f32 v15, v69, v92
	s_waitcnt vmcnt(0)
	v_dual_mul_f32 v30, v79, v104 :: v_dual_mul_f32 v31, v2, v106
	v_fma_f32 v28, v64, v116, -v28
	v_fma_f32 v24, v72, v87, -v29
	v_mul_f32_e32 v29, v3, v106
	v_fma_f32 v7, v54, v114, -v7
	v_fma_f32 v26, v76, v97, -v26
	ds_store_2addr_b64 v13, v[4:5], v[27:28] offset0:184 offset1:239
	v_mul_f32_e32 v5, v0, v100
	v_mul_f32_e32 v4, v1, v100
	;; [unrolled: 1-line block ×4, first 2 shown]
	v_fma_f32 v9, v66, v93, -v9
	v_fma_f32 v5, v1, v99, -v5
	v_mul_f32_e32 v1, v77, v96
	v_fmac_f32_e32 v27, v77, v95
	v_fmac_f32_e32 v4, v0, v99
	v_mul_f32_e32 v0, v80, v104
	v_fmac_f32_e32 v14, v69, v91
	v_fma_f32 v11, v68, v89, -v11
	v_fma_f32 v28, v78, v95, -v1
	;; [unrolled: 1-line block ×3, first 2 shown]
	v_fmac_f32_e32 v0, v79, v103
	v_fma_f32 v1, v80, v103, -v30
	v_fmac_f32_e32 v29, v2, v105
	v_fma_f32 v30, v3, v105, -v31
	s_clause 0xc
	scratch_store_b64 off, v[107:108], off offset:156
	scratch_store_b64 off, v[109:110], off offset:164
	;; [unrolled: 1-line block ×13, first 2 shown]
	ds_store_2addr_b64 v83, v[6:7], v[25:26] offset0:75 offset1:130
	ds_store_2addr_b64 v84, v[8:9], v[4:5] offset0:94 offset1:149
	;; [unrolled: 1-line block ×5, first 2 shown]
	s_waitcnt lgkmcnt(0)
	s_waitcnt_vscnt null, 0x0
	s_barrier
	buffer_gl0_inv
	ds_load_2addr_b64 v[0:3], v19 offset0:92 offset1:147
	ds_load_2addr_b64 v[24:27], v20 offset0:114 offset1:169
	scratch_store_b32 off, v111, off        ; 4-byte Folded Spill
	v_add_co_ci_u32_e64 v4, null, 0, 0, s0
	ds_load_2addr_b64 v[28:31], v17 offset0:38 offset1:93
	ds_load_2addr_b64 v[4:7], v18 offset0:40 offset1:95
	v_add_nc_u32_e32 v23, 0x3400, v112
	ds_load_2addr_b64 v[32:35], v112 offset1:55
	ds_load_2addr_b64 v[8:11], v22 offset0:2 offset1:57
	ds_load_2addr_b64 v[36:39], v12 offset0:76 offset1:131
	;; [unrolled: 1-line block ×12, first 2 shown]
	ds_load_b64 v[14:15], v112 offset:14960
	s_waitcnt lgkmcnt(0)
	s_waitcnt_vscnt null, 0x0
	s_barrier
	buffer_gl0_inv
                                        ; implicit-def: $vgpr116
	v_dual_add_f32 v80, v2, v24 :: v_dual_add_f32 v81, v3, v25
	v_dual_sub_f32 v2, v2, v24 :: v_dual_sub_f32 v3, v3, v25
	v_dual_add_f32 v24, v28, v6 :: v_dual_add_f32 v25, v29, v7
	v_dual_sub_f32 v6, v28, v6 :: v_dual_sub_f32 v7, v29, v7
	;; [unrolled: 2-line block ×3, first 2 shown]
	v_add_f32_e32 v37, v41, v27
	v_sub_f32_e32 v27, v41, v27
	v_add_f32_e32 v41, v31, v49
	v_dual_sub_f32 v31, v31, v49 :: v_dual_add_f32 v36, v40, v26
	v_dual_add_f32 v49, v45, v39 :: v_dual_sub_f32 v26, v40, v26
	v_dual_sub_f32 v39, v39, v45 :: v_dual_add_f32 v40, v30, v48
	v_dual_add_f32 v83, v43, v65 :: v_dual_sub_f32 v30, v30, v48
	v_add_f32_e32 v48, v44, v38
	v_sub_f32_e32 v38, v38, v44
	v_add_f32_e32 v82, v42, v64
	v_sub_f32_e32 v42, v42, v64
	v_dual_add_f32 v44, v24, v80 :: v_dual_add_f32 v85, v10, v6
	v_dual_add_f32 v45, v25, v81 :: v_dual_sub_f32 v64, v24, v80
	v_dual_sub_f32 v87, v10, v6 :: v_dual_sub_f32 v84, v25, v81
	v_dual_sub_f32 v89, v6, v2 :: v_dual_sub_f32 v80, v80, v28
	v_sub_f32_e32 v81, v81, v29
	v_dual_sub_f32 v25, v29, v25 :: v_dual_add_f32 v86, v11, v7
	v_dual_sub_f32 v91, v40, v36 :: v_dual_sub_f32 v88, v11, v7
	v_sub_f32_e32 v11, v3, v11
	v_dual_sub_f32 v95, v38, v30 :: v_dual_sub_f32 v24, v28, v24
	v_dual_add_f32 v93, v38, v30 :: v_dual_sub_f32 v90, v7, v3
	v_add_f32_e32 v29, v29, v45
	v_dual_add_f32 v7, v41, v37 :: v_dual_sub_f32 v10, v2, v10
	v_add_f32_e32 v6, v40, v36
	v_dual_sub_f32 v92, v41, v37 :: v_dual_add_f32 v3, v86, v3
	v_dual_sub_f32 v36, v36, v48 :: v_dual_mul_f32 v45, 0x3f4a47b2, v81
	v_dual_sub_f32 v37, v37, v49 :: v_dual_sub_f32 v40, v48, v40
	v_mul_f32_e32 v81, 0x3d64c772, v25
	v_dual_sub_f32 v41, v49, v41 :: v_dual_add_f32 v94, v39, v31
	v_sub_f32_e32 v38, v26, v38
	v_dual_sub_f32 v30, v30, v26 :: v_dual_add_f32 v49, v49, v7
	v_dual_add_f32 v2, v85, v2 :: v_dual_mul_f32 v85, 0xbf08b237, v87
	v_dual_mul_f32 v86, 0xbf08b237, v88 :: v_dual_mul_f32 v95, 0xbf08b237, v95
	v_dual_mul_f32 v87, 0x3f5ff5aa, v89 :: v_dual_add_f32 v28, v28, v44
	v_dual_mul_f32 v44, 0x3f4a47b2, v80 :: v_dual_add_f32 v7, v33, v29
	v_dual_mul_f32 v80, 0x3d64c772, v24 :: v_dual_fmamk_f32 v25, v25, 0x3d64c772, v45
	v_mul_f32_e32 v88, 0x3f5ff5aa, v90
	v_dual_sub_f32 v96, v39, v31 :: v_dual_mul_f32 v37, 0x3f4a47b2, v37
	v_sub_f32_e32 v39, v27, v39
	v_dual_sub_f32 v31, v31, v27 :: v_dual_add_f32 v48, v48, v6
	v_dual_add_f32 v27, v94, v27 :: v_dual_add_f32 v6, v32, v28
	v_fmamk_f32 v29, v29, 0xbf955555, v7
	v_fma_f32 v32, 0x3f3bfb3b, v64, -v80
	v_fma_f32 v33, 0x3f3bfb3b, v84, -v81
	;; [unrolled: 1-line block ×3, first 2 shown]
	v_fmamk_f32 v80, v11, 0x3eae86e6, v86
	v_fma_f32 v84, 0x3f5ff5aa, v90, -v86
	v_fma_f32 v86, 0xbeae86e6, v11, -v88
	v_dual_add_f32 v11, v35, v49 :: v_dual_add_f32 v26, v93, v26
	v_mul_f32_e32 v93, 0x3d64c772, v40
	v_mul_f32_e32 v96, 0xbf08b237, v96
	v_fmamk_f32 v24, v24, 0x3d64c772, v44
	v_fma_f32 v44, 0xbf3bfb3b, v64, -v44
	v_fma_f32 v81, 0x3f5ff5aa, v89, -v85
	v_fmamk_f32 v35, v41, 0x3d64c772, v37
	v_fma_f32 v89, 0x3f5ff5aa, v30, -v95
	v_fmamk_f32 v28, v28, 0xbf955555, v6
	v_fmac_f32_e32 v80, 0x3ee1c552, v3
	v_fmac_f32_e32 v84, 0x3ee1c552, v3
	;; [unrolled: 1-line block ×3, first 2 shown]
	v_fmamk_f32 v3, v49, 0xbf955555, v11
	v_fmamk_f32 v64, v10, 0x3eae86e6, v85
	v_fma_f32 v85, 0xbeae86e6, v10, -v87
	v_dual_add_f32 v10, v34, v48 :: v_dual_fmac_f32 v81, 0x3ee1c552, v2
	v_mul_f32_e32 v36, 0x3f4a47b2, v36
	v_dual_mul_f32 v97, 0x3f5ff5aa, v30 :: v_dual_mul_f32 v98, 0x3f5ff5aa, v31
	v_fma_f32 v90, 0x3f5ff5aa, v31, -v96
	v_fmac_f32_e32 v85, 0x3ee1c552, v2
	v_dual_add_f32 v31, v33, v29 :: v_dual_fmac_f32 v64, 0x3ee1c552, v2
	v_fmamk_f32 v2, v48, 0xbf955555, v10
	v_mul_f32_e32 v94, 0x3d64c772, v41
	v_fma_f32 v37, 0xbf3bfb3b, v92, -v37
	v_dual_add_f32 v33, v45, v29 :: v_dual_fmamk_f32 v88, v39, 0x3eae86e6, v96
	v_fmamk_f32 v87, v38, 0x3eae86e6, v95
	s_delay_alu instid0(VALU_DEP_4)
	v_fma_f32 v41, 0x3f3bfb3b, v92, -v94
	v_fma_f32 v92, 0xbeae86e6, v39, -v98
	v_add_f32_e32 v39, v25, v29
	v_dual_add_f32 v29, v81, v31 :: v_dual_fmamk_f32 v34, v40, 0x3d64c772, v36
	v_fma_f32 v40, 0x3f3bfb3b, v91, -v93
	v_fma_f32 v36, 0xbf3bfb3b, v91, -v36
	s_delay_alu instid0(VALU_DEP_4) | instskip(SKIP_4) | instid1(VALU_DEP_4)
	v_sub_f32_e32 v25, v39, v64
	v_fma_f32 v91, 0xbeae86e6, v38, -v97
	v_dual_fmac_f32 v88, 0x3ee1c552, v27 :: v_dual_fmac_f32 v89, 0x3ee1c552, v26
	v_add_f32_e32 v94, v35, v3
	v_add_f32_e32 v45, v41, v3
	v_fmac_f32_e32 v91, 0x3ee1c552, v26
	v_dual_add_f32 v3, v37, v3 :: v_dual_add_f32 v30, v32, v28
	v_dual_add_f32 v32, v44, v28 :: v_dual_fmac_f32 v87, 0x3ee1c552, v26
	s_delay_alu instid0(VALU_DEP_4)
	v_dual_fmac_f32 v92, 0x3ee1c552, v27 :: v_dual_add_f32 v41, v89, v45
	v_sub_f32_e32 v31, v31, v81
	v_add_f32_e32 v93, v34, v2
	v_dual_add_f32 v44, v40, v2 :: v_dual_add_f32 v49, v91, v3
	v_add_f32_e32 v2, v36, v2
	v_add_f32_e32 v35, v64, v39
	v_sub_f32_e32 v39, v3, v91
	v_dual_sub_f32 v45, v45, v89 :: v_dual_add_f32 v26, v86, v32
	v_add_f32_e32 v3, v56, v50
	v_dual_add_f32 v38, v24, v28 :: v_dual_sub_f32 v37, v94, v87
	v_sub_f32_e32 v48, v2, v92
	v_sub_f32_e32 v28, v30, v84
	v_add_f32_e32 v30, v84, v30
	s_delay_alu instid0(VALU_DEP_4)
	v_dual_add_f32 v24, v38, v80 :: v_dual_add_f32 v81, v87, v94
	v_sub_f32_e32 v34, v38, v80
	v_add_f32_e32 v38, v92, v2
	v_dual_sub_f32 v2, v43, v65 :: v_dual_add_f32 v43, v57, v51
	v_dual_sub_f32 v32, v32, v86 :: v_dual_sub_f32 v51, v57, v51
	v_add_f32_e32 v57, v47, v61
	v_sub_f32_e32 v47, v61, v47
	s_delay_alu instid0(VALU_DEP_4)
	v_add_f32_e32 v61, v43, v83
	v_fmac_f32_e32 v90, 0x3ee1c552, v27
	v_dual_add_f32 v36, v93, v88 :: v_dual_sub_f32 v65, v43, v83
	v_sub_f32_e32 v50, v56, v50
	v_dual_add_f32 v56, v46, v60 :: v_dual_sub_f32 v83, v83, v57
	v_sub_f32_e32 v84, v57, v43
	;; [unrolled: 2-line block ×3, first 2 shown]
	v_dual_add_f32 v33, v85, v33 :: v_dual_sub_f32 v40, v44, v90
	v_dual_add_f32 v85, v47, v51 :: v_dual_add_f32 v44, v90, v44
	s_delay_alu instid0(VALU_DEP_4) | instskip(SKIP_4) | instid1(VALU_DEP_2)
	v_dual_sub_f32 v80, v93, v88 :: v_dual_add_f32 v43, v46, v50
	v_add_f32_e32 v60, v3, v82
	v_sub_f32_e32 v87, v47, v51
	v_dual_sub_f32 v64, v3, v82 :: v_dual_sub_f32 v3, v56, v3
	v_sub_f32_e32 v82, v82, v56
                                        ; implicit-def: $vgpr92
                                        ; implicit-def: $vgpr98
	v_dual_mul_f32 v61, 0x3d64c772, v3 :: v_dual_add_f32 v56, v56, v60
	v_dual_add_f32 v60, v43, v42 :: v_dual_add_f32 v43, v53, v57
	v_mul_f32_e32 v53, 0x3f4a47b2, v83
	v_sub_f32_e32 v47, v2, v47
	v_sub_f32_e32 v51, v51, v2
	;; [unrolled: 1-line block ×3, first 2 shown]
	v_dual_sub_f32 v46, v42, v46 :: v_dual_fmamk_f32 v57, v57, 0xbf955555, v43
	v_sub_f32_e32 v50, v50, v42
	v_add_f32_e32 v42, v52, v56
	v_mul_f32_e32 v52, 0x3f4a47b2, v82
	s_delay_alu instid0(VALU_DEP_1)
	v_dual_fmamk_f32 v3, v3, 0x3d64c772, v52 :: v_dual_add_f32 v2, v85, v2
	v_mul_f32_e32 v85, 0xbf08b237, v87
	v_mul_f32_e32 v87, 0x3f5ff5aa, v51
	;; [unrolled: 1-line block ×4, first 2 shown]
	v_fmamk_f32 v84, v84, 0x3d64c772, v53
	v_fma_f32 v53, 0xbf3bfb3b, v65, -v53
	v_fma_f32 v61, 0x3f3bfb3b, v64, -v61
	;; [unrolled: 1-line block ×4, first 2 shown]
	v_fmamk_f32 v65, v46, 0x3eae86e6, v83
	v_fma_f32 v83, 0x3f5ff5aa, v50, -v83
	v_add_f32_e32 v89, v53, v57
	v_fma_f32 v87, 0xbeae86e6, v47, -v87
	v_add_f32_e32 v82, v82, v57
	v_fmamk_f32 v56, v56, 0xbf955555, v42
	s_delay_alu instid0(VALU_DEP_1)
	v_dual_add_f32 v61, v61, v56 :: v_dual_add_f32 v84, v84, v57
	v_fmac_f32_e32 v65, 0x3ee1c552, v60
	v_fmamk_f32 v64, v47, 0x3eae86e6, v85
	v_fmac_f32_e32 v83, 0x3ee1c552, v60
	v_mul_f32_e32 v86, 0x3f5ff5aa, v50
	v_fma_f32 v85, 0x3f5ff5aa, v51, -v85
	v_sub_f32_e32 v47, v84, v65
	v_add_f32_e32 v65, v65, v84
	v_sub_f32_e32 v57, v82, v83
	v_fma_f32 v86, 0xbeae86e6, v46, -v86
	v_add_f32_e32 v53, v83, v82
	v_add_f32_e32 v3, v3, v56
	v_dual_add_f32 v88, v52, v56 :: v_dual_fmac_f32 v87, 0x3ee1c552, v2
	v_fmac_f32_e32 v64, 0x3ee1c552, v2
	v_dual_fmac_f32 v86, 0x3ee1c552, v60 :: v_dual_fmac_f32 v85, 0x3ee1c552, v2
	v_add_f32_e32 v2, v68, v66
	s_delay_alu instid0(VALU_DEP_4) | instskip(NEXT) | instid1(VALU_DEP_4)
	v_sub_f32_e32 v60, v88, v87
	v_add_f32_e32 v46, v3, v64
	v_dual_sub_f32 v64, v3, v64 :: v_dual_add_f32 v3, v69, v67
	v_sub_f32_e32 v67, v69, v67
	v_add_f32_e32 v69, v59, v77
	v_add_f32_e32 v50, v87, v88
	v_sub_f32_e32 v66, v68, v66
	v_dual_add_f32 v68, v58, v76 :: v_dual_sub_f32 v59, v59, v77
	s_delay_alu instid0(VALU_DEP_4) | instskip(SKIP_3) | instid1(VALU_DEP_3)
	v_sub_f32_e32 v83, v69, v3
	v_add_f32_e32 v77, v73, v63
	v_sub_f32_e32 v63, v63, v73
	v_dual_add_f32 v73, v69, v3 :: v_dual_sub_f32 v58, v58, v76
	v_dual_add_f32 v76, v72, v62 :: v_dual_sub_f32 v69, v77, v69
	v_sub_f32_e32 v62, v62, v72
	s_delay_alu instid0(VALU_DEP_3)
	v_dual_add_f32 v72, v68, v2 :: v_dual_add_f32 v73, v77, v73
	v_sub_f32_e32 v3, v3, v77
	v_sub_f32_e32 v51, v89, v86
	;; [unrolled: 1-line block ×3, first 2 shown]
	v_dual_add_f32 v56, v85, v61 :: v_dual_sub_f32 v87, v63, v59
	v_dual_add_f32 v61, v86, v89 :: v_dual_sub_f32 v82, v68, v2
	v_dual_sub_f32 v68, v76, v68 :: v_dual_add_f32 v55, v55, v73
	v_dual_add_f32 v85, v63, v59 :: v_dual_sub_f32 v2, v2, v76
	v_dual_sub_f32 v63, v67, v63 :: v_dual_add_f32 v84, v62, v58
	v_dual_mul_f32 v3, 0x3f4a47b2, v3 :: v_dual_sub_f32 v86, v62, v58
	v_dual_mul_f32 v77, 0x3d64c772, v69 :: v_dual_sub_f32 v62, v66, v62
	v_dual_add_f32 v72, v76, v72 :: v_dual_fmamk_f32 v73, v73, 0xbf955555, v55
	v_dual_sub_f32 v59, v59, v67 :: v_dual_sub_f32 v58, v58, v66
	s_delay_alu instid0(VALU_DEP_4) | instskip(SKIP_3) | instid1(VALU_DEP_4)
	v_dual_add_f32 v66, v84, v66 :: v_dual_fmamk_f32 v69, v69, 0x3d64c772, v3
	v_dual_add_f32 v67, v85, v67 :: v_dual_mul_f32 v2, 0x3f4a47b2, v2
	v_mul_f32_e32 v85, 0xbf08b237, v87
	v_fma_f32 v77, 0x3f3bfb3b, v83, -v77
	v_dual_add_f32 v89, v69, v73 :: v_dual_mul_f32 v76, 0x3d64c772, v68
	v_fma_f32 v3, 0xbf3bfb3b, v83, -v3
	v_mul_f32_e32 v84, 0xbf08b237, v86
	v_dual_add_f32 v54, v54, v72 :: v_dual_fmamk_f32 v83, v63, 0x3eae86e6, v85
	v_mul_f32_e32 v87, 0x3f5ff5aa, v59
	v_add_f32_e32 v69, v77, v73
	v_fma_f32 v76, 0x3f3bfb3b, v82, -v76
	v_dual_add_f32 v3, v3, v73 :: v_dual_fmamk_f32 v68, v68, 0x3d64c772, v2
	v_fma_f32 v2, 0xbf3bfb3b, v82, -v2
	v_fmamk_f32 v82, v62, 0x3eae86e6, v84
	v_fma_f32 v84, 0x3f5ff5aa, v58, -v84
	v_fma_f32 v85, 0x3f5ff5aa, v59, -v85
	v_fma_f32 v87, 0xbeae86e6, v63, -v87
	s_delay_alu instid0(VALU_DEP_3) | instskip(SKIP_1) | instid1(VALU_DEP_3)
	v_dual_fmac_f32 v83, 0x3ee1c552, v67 :: v_dual_fmac_f32 v84, 0x3ee1c552, v66
	v_mul_f32_e32 v86, 0x3f5ff5aa, v58
	v_fmac_f32_e32 v87, 0x3ee1c552, v67
	v_fmac_f32_e32 v85, 0x3ee1c552, v67
	s_delay_alu instid0(VALU_DEP_4) | instskip(NEXT) | instid1(VALU_DEP_4)
	v_add_f32_e32 v67, v84, v69
	v_fma_f32 v86, 0xbeae86e6, v62, -v86
	v_dual_sub_f32 v69, v69, v84 :: v_dual_fmac_f32 v82, 0x3ee1c552, v66
	v_fmamk_f32 v72, v72, 0xbf955555, v54
	s_delay_alu instid0(VALU_DEP_3) | instskip(NEXT) | instid1(VALU_DEP_2)
	v_fmac_f32_e32 v86, 0x3ee1c552, v66
	v_dual_sub_f32 v59, v89, v82 :: v_dual_add_f32 v2, v2, v72
	s_delay_alu instid0(VALU_DEP_2)
	v_dual_sub_f32 v63, v3, v86 :: v_dual_add_f32 v88, v68, v72
	v_add_f32_e32 v73, v86, v3
	v_add_f32_e32 v3, v71, v15
	v_dual_sub_f32 v15, v71, v15 :: v_dual_add_f32 v68, v76, v72
	v_dual_add_f32 v77, v82, v89 :: v_dual_add_f32 v62, v87, v2
	v_add_f32_e32 v71, v9, v79
	v_add_f32_e32 v58, v88, v83
	s_delay_alu instid0(VALU_DEP_4)
	v_sub_f32_e32 v66, v68, v85
	v_add_f32_e32 v68, v85, v68
	v_sub_f32_e32 v9, v9, v79
	v_add_f32_e32 v79, v75, v5
	v_sub_f32_e32 v5, v5, v75
	v_sub_f32_e32 v72, v2, v87
	v_add_f32_e32 v2, v70, v14
	v_sub_f32_e32 v14, v70, v14
	v_dual_add_f32 v70, v8, v78 :: v_dual_add_f32 v75, v71, v3
	v_sub_f32_e32 v8, v8, v78
	v_add_f32_e32 v78, v74, v4
	v_sub_f32_e32 v76, v88, v83
	s_delay_alu instid0(VALU_DEP_4)
	v_dual_sub_f32 v4, v4, v74 :: v_dual_add_f32 v75, v79, v75
	v_sub_f32_e32 v83, v71, v3
	v_sub_f32_e32 v3, v3, v79
	v_dual_sub_f32 v71, v79, v71 :: v_dual_add_f32 v74, v70, v2
	v_sub_f32_e32 v82, v70, v2
	v_dual_sub_f32 v70, v78, v70 :: v_dual_add_f32 v85, v5, v9
	v_dual_sub_f32 v2, v2, v78 :: v_dual_sub_f32 v87, v5, v9
	v_dual_sub_f32 v89, v15, v5 :: v_dual_add_f32 v84, v4, v8
	v_dual_sub_f32 v86, v4, v8 :: v_dual_add_f32 v5, v1, v75
	v_dual_add_f32 v74, v78, v74 :: v_dual_mul_f32 v1, 0x3f4a47b2, v3
	v_dual_mul_f32 v3, 0x3d64c772, v71 :: v_dual_sub_f32 v88, v14, v4
	v_mul_f32_e32 v79, 0xbf08b237, v87
	v_dual_sub_f32 v9, v9, v15 :: v_dual_sub_f32 v8, v8, v14
	s_delay_alu instid0(VALU_DEP_4)
	v_dual_add_f32 v14, v84, v14 :: v_dual_fmamk_f32 v71, v71, 0x3d64c772, v1
	v_add_f32_e32 v15, v85, v15
	v_dual_fmamk_f32 v75, v75, 0xbf955555, v5 :: v_dual_add_f32 v4, v0, v74
	v_mul_f32_e32 v0, 0x3f4a47b2, v2
	v_fma_f32 v3, 0x3f3bfb3b, v83, -v3
	v_mul_f32_e32 v2, 0x3d64c772, v70
	v_fma_f32 v1, 0xbf3bfb3b, v83, -v1
	v_mul_f32_e32 v78, 0xbf08b237, v86
	v_mul_f32_e32 v85, 0x3f5ff5aa, v9
	v_add_f32_e32 v87, v71, v75
	v_add_f32_e32 v3, v3, v75
	v_dual_add_f32 v1, v1, v75 :: v_dual_fmamk_f32 v70, v70, 0x3d64c772, v0
	v_fma_f32 v2, 0x3f3bfb3b, v82, -v2
	v_fma_f32 v0, 0xbf3bfb3b, v82, -v0
	v_fmamk_f32 v82, v88, 0x3eae86e6, v78
	v_fma_f32 v78, 0x3f5ff5aa, v8, -v78
	v_fmamk_f32 v83, v89, 0x3eae86e6, v79
	v_fma_f32 v85, 0xbeae86e6, v89, -v85
	v_fma_f32 v79, 0x3f5ff5aa, v9, -v79
	s_delay_alu instid0(VALU_DEP_3) | instskip(NEXT) | instid1(VALU_DEP_3)
	v_dual_fmac_f32 v78, 0x3ee1c552, v14 :: v_dual_fmac_f32 v83, 0x3ee1c552, v15
	v_fmac_f32_e32 v85, 0x3ee1c552, v15
	s_delay_alu instid0(VALU_DEP_3) | instskip(NEXT) | instid1(VALU_DEP_3)
	v_fmac_f32_e32 v79, 0x3ee1c552, v15
	v_dual_add_f32 v71, v78, v3 :: v_dual_fmac_f32 v82, 0x3ee1c552, v14
	v_dual_mul_f32 v84, 0x3f5ff5aa, v8 :: v_dual_sub_f32 v75, v3, v78
	s_delay_alu instid0(VALU_DEP_2) | instskip(NEXT) | instid1(VALU_DEP_2)
	v_sub_f32_e32 v9, v87, v82
	v_fma_f32 v84, 0xbeae86e6, v88, -v84
	v_mul_lo_u16 v88, v16, 7
	v_add_f32_e32 v3, v82, v87
                                        ; kill: def $vgpr16 killed $sgpr0 killed $exec
	s_delay_alu instid0(VALU_DEP_3) | instskip(SKIP_1) | instid1(VALU_DEP_4)
	v_fmac_f32_e32 v84, 0x3ee1c552, v14
	v_fmamk_f32 v74, v74, 0xbf955555, v4
	v_and_b32_e32 v78, 0xffff, v88
                                        ; implicit-def: $vgpr88
	s_delay_alu instid0(VALU_DEP_2) | instskip(SKIP_2) | instid1(VALU_DEP_3)
	v_dual_sub_f32 v15, v1, v84 :: v_dual_add_f32 v86, v70, v74
	v_dual_add_f32 v1, v84, v1 :: v_dual_add_f32 v2, v2, v74
	v_add_f32_e32 v0, v0, v74
	v_add_f32_e32 v8, v86, v83
	s_delay_alu instid0(VALU_DEP_3)
	v_sub_f32_e32 v70, v2, v79
	v_add_f32_e32 v74, v79, v2
	v_lshlrev_b32_e32 v79, 3, v78
	v_mul_u32_u24_e32 v78, 7, v211
	ds_store_2addr_b64 v79, v[6:7], v[24:25] offset1:1
	ds_store_2addr_b64 v79, v[26:27], v[28:29] offset0:2 offset1:3
	v_lshlrev_b32_e32 v24, 3, v78
	v_mul_u32_u24_e32 v6, 7, v210
	v_mul_u32_u24_e32 v7, 7, v223
	ds_store_2addr_b64 v79, v[30:31], v[32:33] offset0:4 offset1:5
	ds_store_b64 v79, v[34:35] offset:48
	scratch_store_b32 off, v79, off offset:452 ; 4-byte Folded Spill
	ds_store_2addr_b64 v24, v[10:11], v[36:37] offset1:1
	ds_store_2addr_b64 v24, v[38:39], v[40:41] offset0:2 offset1:3
	v_lshlrev_b32_e32 v10, 3, v6
	v_mul_u32_u24_e32 v6, 7, v224
	v_dual_add_f32 v14, v85, v0 :: v_dual_lshlrev_b32 v7, 3, v7
	v_sub_f32_e32 v2, v86, v83
	v_sub_f32_e32 v0, v0, v85
	s_delay_alu instid0(VALU_DEP_4)
	v_lshlrev_b32_e32 v6, 3, v6
	ds_store_2addr_b64 v24, v[44:45], v[48:49] offset0:4 offset1:5
	ds_store_b64 v24, v[80:81] offset:48
	scratch_store_b32 off, v24, off offset:448 ; 4-byte Folded Spill
	ds_store_2addr_b64 v10, v[42:43], v[46:47] offset1:1
	ds_store_2addr_b64 v10, v[50:51], v[52:53] offset0:2 offset1:3
	ds_store_2addr_b64 v10, v[56:57], v[60:61] offset0:4 offset1:5
	scratch_store_b32 off, v10, off offset:440 ; 4-byte Folded Spill
	ds_store_b64 v10, v[64:65] offset:48
	ds_store_2addr_b64 v7, v[54:55], v[58:59] offset1:1
	ds_store_2addr_b64 v7, v[62:63], v[66:67] offset0:2 offset1:3
	ds_store_2addr_b64 v7, v[68:69], v[72:73] offset0:4 offset1:5
	scratch_store_b32 off, v7, off offset:420 ; 4-byte Folded Spill
	ds_store_b64 v7, v[76:77] offset:48
	ds_store_2addr_b64 v6, v[4:5], v[8:9] offset1:1
	ds_store_2addr_b64 v6, v[14:15], v[70:71] offset0:2 offset1:3
	ds_store_2addr_b64 v6, v[74:75], v[0:1] offset0:4 offset1:5
	v_add_nc_u32_e32 v4, 0xc00, v112
	scratch_store_b32 off, v6, off offset:384 ; 4-byte Folded Spill
	ds_store_b64 v6, v[2:3] offset:48
	s_waitcnt lgkmcnt(0)
	s_waitcnt_vscnt null, 0x0
	s_barrier
	buffer_gl0_inv
	ds_load_2addr_b64 v[84:87], v112 offset1:55
	ds_load_2addr_b64 v[80:83], v112 offset0:110 offset1:175
	ds_load_2addr_b64 v[38:41], v13 offset0:94 offset1:149
	;; [unrolled: 1-line block ×4, first 2 shown]
	v_add_nc_u32_e32 v4, 0x2c00, v112
	ds_load_2addr_b64 v[72:75], v22 offset0:42 offset1:107
	ds_load_2addr_b64 v[62:65], v12 offset0:26 offset1:81
	ds_load_2addr_b64 v[12:15], v12 offset0:136 offset1:201
	ds_load_2addr_b64 v[58:61], v18 offset0:120 offset1:175
	ds_load_2addr_b64 v[8:11], v4 offset0:102 offset1:167
	ds_load_2addr_b64 v[44:47], v23 offset0:86 offset1:141
	ds_load_2addr_b64 v[108:111], v19 offset0:102 offset1:157
	ds_load_2addr_b64 v[104:107], v17 offset0:68 offset1:123
	ds_load_2addr_b64 v[100:103], v22 offset0:162 offset1:217
	ds_load_2addr_b64 v[76:79], v18 offset1:55
	ds_load_2addr_b64 v[4:7], v20 offset0:94 offset1:149
	ds_load_b64 v[114:115], v112 offset:14880
                                        ; implicit-def: $vgpr18
	s_and_saveexec_b32 s0, vcc_lo
	s_cbranch_execz .LBB0_3
; %bb.2:
	v_add_nc_u32_e32 v22, 0x1a00, v112
	ds_load_2addr_b64 v[0:3], v19 offset0:37 offset1:212
	ds_load_2addr_b64 v[16:19], v17 offset0:3 offset1:178
	;; [unrolled: 1-line block ×4, first 2 shown]
	ds_load_b64 v[116:117], v112 offset:15320
	ds_load_2addr_b64 v[96:99], v22 offset0:33 offset1:208
.LBB0_3:
	s_or_b32 exec_lo, exec_lo, s0
	scratch_load_b32 v23, off, off          ; 4-byte Folded Reload
	v_and_b32_e32 v118, 0xff, v210
	s_waitcnt vmcnt(0)
	v_and_b32_e32 v20, 0xff, v23
	s_delay_alu instid0(VALU_DEP_1) | instskip(NEXT) | instid1(VALU_DEP_1)
	v_mul_lo_u16 v20, v20, 37
	v_lshrrev_b16 v20, 8, v20
	s_delay_alu instid0(VALU_DEP_1) | instskip(NEXT) | instid1(VALU_DEP_1)
	v_sub_nc_u16 v21, v23, v20
	v_lshrrev_b16 v21, 1, v21
	s_delay_alu instid0(VALU_DEP_1) | instskip(NEXT) | instid1(VALU_DEP_1)
	v_and_b32_e32 v21, 0x7f, v21
	v_add_nc_u16 v20, v21, v20
	s_delay_alu instid0(VALU_DEP_1) | instskip(NEXT) | instid1(VALU_DEP_1)
	v_lshrrev_b16 v129, 2, v20
	v_mul_lo_u16 v20, v129, 7
	s_delay_alu instid0(VALU_DEP_1) | instskip(NEXT) | instid1(VALU_DEP_1)
	v_sub_nc_u16 v20, v23, v20
	v_and_b32_e32 v135, 0xff, v20
	s_delay_alu instid0(VALU_DEP_1) | instskip(NEXT) | instid1(VALU_DEP_1)
	v_mul_u32_u24_e32 v20, 10, v135
	v_lshlrev_b32_e32 v20, 3, v20
	s_clause 0x1
	global_load_b128 v[30:33], v20, s[10:11]
	global_load_b128 v[123:126], v20, s[10:11] offset:16
	v_and_b32_e32 v21, 0xff, v211
	s_delay_alu instid0(VALU_DEP_1) | instskip(NEXT) | instid1(VALU_DEP_1)
	v_mul_lo_u16 v21, v21, 37
	v_lshrrev_b16 v21, 8, v21
	s_delay_alu instid0(VALU_DEP_1) | instskip(NEXT) | instid1(VALU_DEP_1)
	v_sub_nc_u16 v22, v211, v21
	v_lshrrev_b16 v22, 1, v22
	s_waitcnt vmcnt(1) lgkmcnt(14)
	v_mul_f32_e32 v164, v38, v33
	s_waitcnt vmcnt(0) lgkmcnt(12)
	v_mul_f32_e32 v177, v34, v126
	v_and_b32_e32 v22, 0x7f, v22
	s_delay_alu instid0(VALU_DEP_3) | instskip(NEXT) | instid1(VALU_DEP_3)
	v_fmac_f32_e32 v164, v39, v32
	v_fmac_f32_e32 v177, v35, v125
	s_delay_alu instid0(VALU_DEP_3) | instskip(SKIP_1) | instid1(VALU_DEP_2)
	v_add_nc_u16 v21, v22, v21
	v_mul_f32_e32 v22, v39, v33
	v_lshrrev_b16 v119, 2, v21
	s_delay_alu instid0(VALU_DEP_2) | instskip(NEXT) | instid1(VALU_DEP_2)
	v_fma_f32 v165, v38, v32, -v22
	v_mul_lo_u16 v21, v119, 7
	s_delay_alu instid0(VALU_DEP_1) | instskip(NEXT) | instid1(VALU_DEP_1)
	v_sub_nc_u16 v21, v211, v21
	v_and_b32_e32 v120, 0xff, v21
	s_delay_alu instid0(VALU_DEP_1) | instskip(NEXT) | instid1(VALU_DEP_1)
	v_mul_u32_u24_e32 v21, 10, v120
	v_lshlrev_b32_e32 v21, 3, v21
	s_clause 0x1
	global_load_b128 v[23:26], v21, s[10:11]
	global_load_b128 v[52:55], v20, s[10:11] offset:64
	s_waitcnt vmcnt(1)
	v_mul_f32_e32 v22, v41, v26
	v_mul_f32_e32 v134, v40, v26
	s_waitcnt vmcnt(0) lgkmcnt(6)
	v_mul_f32_e32 v189, v44, v55
	s_delay_alu instid0(VALU_DEP_3) | instskip(NEXT) | instid1(VALU_DEP_3)
	v_fma_f32 v136, v40, v25, -v22
	v_fmac_f32_e32 v134, v41, v25
	s_clause 0x1
	global_load_b128 v[145:148], v21, s[10:11] offset:16
	global_load_b128 v[40:43], v21, s[10:11] offset:32
	v_mul_f32_e32 v22, v35, v126
	s_waitcnt lgkmcnt(5)
	v_dual_mul_f32 v150, v108, v24 :: v_dual_fmac_f32 v189, v45, v54
	s_delay_alu instid0(VALU_DEP_2)
	v_fma_f32 v178, v34, v125, -v22
	s_waitcnt vmcnt(0)
	v_dual_mul_f32 v22, v37, v148 :: v_dual_mul_f32 v131, v64, v43
	v_mul_f32_e32 v130, v36, v148
	s_waitcnt lgkmcnt(4)
	v_dual_mul_f32 v143, v104, v146 :: v_dual_mul_f32 v196, v70, v124
	s_delay_alu instid0(VALU_DEP_3)
	v_fma_f32 v132, v36, v147, -v22
	v_fmac_f32_e32 v131, v65, v42
	v_fmac_f32_e32 v130, v37, v147
	s_clause 0x1
	global_load_b128 v[36:39], v20, s[10:11] offset:32
	global_load_b128 v[48:51], v20, s[10:11] offset:48
	v_dual_fmac_f32 v143, v105, v145 :: v_dual_fmac_f32 v196, v71, v123
	s_waitcnt lgkmcnt(3)
	v_mul_f32_e32 v141, v100, v41
	s_waitcnt vmcnt(1)
	s_delay_alu instid0(VALU_DEP_1)
	v_dual_fmac_f32 v141, v101, v40 :: v_dual_mul_f32 v20, v63, v39
	s_waitcnt vmcnt(0)
	v_mul_f32_e32 v183, v58, v51
	v_mul_f32_e32 v173, v62, v39
	;; [unrolled: 1-line block ×3, first 2 shown]
	v_fma_f32 v174, v62, v38, -v20
	s_delay_alu instid0(VALU_DEP_4) | instskip(NEXT) | instid1(VALU_DEP_4)
	v_dual_mul_f32 v20, v65, v43 :: v_dual_fmac_f32 v183, v59, v50
	v_fmac_f32_e32 v173, v63, v38
	s_delay_alu instid0(VALU_DEP_4) | instskip(NEXT) | instid1(VALU_DEP_3)
	v_fmac_f32_e32 v192, v75, v36
	v_fma_f32 v133, v64, v42, -v20
	v_mul_f32_e32 v20, v59, v51
	s_delay_alu instid0(VALU_DEP_1)
	v_fma_f32 v184, v58, v50, -v20
	s_clause 0x1
	global_load_b128 v[56:59], v21, s[10:11] offset:48
	global_load_b128 v[64:67], v21, s[10:11] offset:64
	scratch_store_b128 off, v[23:26], off offset:388 ; 16-byte Folded Spill
	s_waitcnt vmcnt(1)
	v_mul_f32_e32 v20, v61, v59
	v_mul_f32_e32 v137, v60, v59
	s_waitcnt vmcnt(0)
	v_mul_f32_e32 v140, v46, v67
	s_delay_alu instid0(VALU_DEP_3) | instskip(SKIP_2) | instid1(VALU_DEP_4)
	v_fma_f32 v138, v60, v58, -v20
	v_mul_f32_e32 v20, v45, v55
	v_fmac_f32_e32 v137, v61, v58
	v_fmac_f32_e32 v140, v47, v66
	s_delay_alu instid0(VALU_DEP_3) | instskip(SKIP_1) | instid1(VALU_DEP_1)
	v_fma_f32 v188, v44, v54, -v20
	v_mul_f32_e32 v20, v47, v67
	v_fma_f32 v139, v46, v66, -v20
	v_mul_lo_u16 v20, v118, 37
	s_delay_alu instid0(VALU_DEP_1) | instskip(NEXT) | instid1(VALU_DEP_1)
	v_lshrrev_b16 v20, 8, v20
	v_sub_nc_u16 v21, v210, v20
	s_delay_alu instid0(VALU_DEP_1) | instskip(NEXT) | instid1(VALU_DEP_1)
	v_lshrrev_b16 v21, 1, v21
	v_and_b32_e32 v21, 0x7f, v21
	s_delay_alu instid0(VALU_DEP_1) | instskip(SKIP_1) | instid1(VALU_DEP_2)
	v_add_nc_u16 v20, v21, v20
	v_mul_f32_e32 v21, v109, v24
	v_lshrrev_b16 v121, 2, v20
	s_delay_alu instid0(VALU_DEP_2) | instskip(NEXT) | instid1(VALU_DEP_2)
	v_fma_f32 v149, v108, v23, -v21
	v_mul_lo_u16 v20, v121, 7
	s_delay_alu instid0(VALU_DEP_1) | instskip(NEXT) | instid1(VALU_DEP_1)
	v_sub_nc_u16 v20, v210, v20
	v_and_b32_e32 v122, 0xff, v20
	s_delay_alu instid0(VALU_DEP_1) | instskip(NEXT) | instid1(VALU_DEP_1)
	v_mul_u32_u24_e32 v20, 10, v122
	v_lshlrev_b32_e32 v20, 3, v20
	s_clause 0x1
	global_load_b128 v[44:47], v20, s[10:11]
	global_load_b128 v[60:63], v20, s[10:11] offset:16
	s_clause 0x1
	scratch_store_b128 off, v[123:126], off offset:404
	scratch_store_b128 off, v[145:148], off offset:424
	s_waitcnt lgkmcnt(1)
	v_mul_f32_e32 v147, v4, v65
	s_delay_alu instid0(VALU_DEP_1) | instskip(SKIP_3) | instid1(VALU_DEP_2)
	v_dual_mul_f32 v208, v10, v53 :: v_dual_fmac_f32 v147, v5, v64
	s_waitcnt vmcnt(1)
	v_mul_f32_e32 v21, v111, v45
	v_mul_f32_e32 v175, v110, v45
	v_fma_f32 v168, v110, v44, -v21
	v_mul_f32_e32 v21, v71, v124
	s_delay_alu instid0(VALU_DEP_3) | instskip(NEXT) | instid1(VALU_DEP_2)
	v_fmac_f32_e32 v175, v111, v44
	v_fma_f32 v197, v70, v123, -v21
	v_mul_f32_e32 v21, v69, v47
	s_delay_alu instid0(VALU_DEP_1) | instskip(SKIP_3) | instid1(VALU_DEP_3)
	v_fma_f32 v110, v68, v46, -v21
	v_mul_f32_e32 v21, v105, v146
	v_fmac_f32_e32 v150, v109, v23
	v_mul_f32_e32 v109, v68, v47
	v_fma_f32 v144, v104, v145, -v21
	s_waitcnt vmcnt(0)
	v_dual_mul_f32 v21, v107, v61 :: v_dual_mul_f32 v104, v72, v63
	s_delay_alu instid0(VALU_DEP_3) | instskip(SKIP_2) | instid1(VALU_DEP_4)
	v_fmac_f32_e32 v109, v69, v46
	v_add_f32_e32 v161, v150, v140
	v_mul_f32_e32 v145, v76, v57
	v_fma_f32 v108, v106, v60, -v21
	v_mul_f32_e32 v106, v106, v61
	v_dual_mul_f32 v21, v75, v37 :: v_dual_fmac_f32 v104, v73, v62
	s_delay_alu instid0(VALU_DEP_4) | instskip(NEXT) | instid1(VALU_DEP_2)
	v_dual_mul_f32 v204, v14, v49 :: v_dual_fmac_f32 v145, v77, v56
	v_fma_f32 v194, v74, v36, -v21
	s_delay_alu instid0(VALU_DEP_4) | instskip(NEXT) | instid1(VALU_DEP_1)
	v_dual_mul_f32 v21, v73, v63 :: v_dual_fmac_f32 v106, v107, v60
	v_fma_f32 v105, v72, v62, -v21
	s_clause 0x1
	global_load_b128 v[68:71], v20, s[10:11] offset:32
	global_load_b128 v[72:75], v20, s[10:11] offset:48
	v_dual_mul_f32 v21, v101, v41 :: v_dual_fmac_f32 v204, v15, v48
	v_sub_f32_e32 v225, v196, v183
	s_delay_alu instid0(VALU_DEP_2)
	v_fma_f32 v142, v100, v40, -v21
	s_waitcnt vmcnt(1)
	v_mul_f32_e32 v21, v103, v69
	s_waitcnt vmcnt(0)
	v_mul_f32_e32 v123, v78, v73
	v_mul_f32_e32 v125, v8, v75
	s_delay_alu instid0(VALU_DEP_3) | instskip(SKIP_3) | instid1(VALU_DEP_3)
	v_fma_f32 v107, v102, v68, -v21
	v_mul_f32_e32 v102, v102, v69
	v_mul_f32_e32 v21, v15, v49
	v_fmac_f32_e32 v123, v79, v72
	v_dual_fmac_f32 v125, v9, v74 :: v_dual_fmac_f32 v102, v103, v68
	s_delay_alu instid0(VALU_DEP_3) | instskip(SKIP_3) | instid1(VALU_DEP_3)
	v_fma_f32 v205, v14, v48, -v21
	v_mul_f32_e32 v14, v13, v71
	v_mul_f32_e32 v103, v12, v71
	v_sub_f32_e32 v227, v192, v173
	v_fma_f32 v111, v12, v70, -v14
	v_mul_f32_e32 v12, v77, v57
	s_delay_alu instid0(VALU_DEP_4) | instskip(NEXT) | instid1(VALU_DEP_2)
	v_fmac_f32_e32 v103, v13, v70
	v_fma_f32 v146, v76, v56, -v12
	v_mul_f32_e32 v12, v79, v73
	s_delay_alu instid0(VALU_DEP_1) | instskip(SKIP_1) | instid1(VALU_DEP_1)
	v_fma_f32 v124, v78, v72, -v12
	v_mul_f32_e32 v12, v11, v53
	v_fma_f32 v212, v10, v52, -v12
	v_mul_f32_e32 v10, v9, v75
	s_delay_alu instid0(VALU_DEP_1) | instskip(SKIP_1) | instid1(VALU_DEP_1)
	v_fma_f32 v126, v8, v74, -v10
	v_and_b32_e32 v8, 0xff, v223
	v_mul_lo_u16 v9, v8, 37
	s_delay_alu instid0(VALU_DEP_1) | instskip(NEXT) | instid1(VALU_DEP_1)
	v_lshrrev_b16 v9, 8, v9
	v_sub_nc_u16 v10, v223, v9
	s_delay_alu instid0(VALU_DEP_1) | instskip(NEXT) | instid1(VALU_DEP_1)
	v_lshrrev_b16 v10, 1, v10
	v_and_b32_e32 v10, 0x7f, v10
	s_delay_alu instid0(VALU_DEP_1) | instskip(NEXT) | instid1(VALU_DEP_1)
	v_add_nc_u16 v9, v10, v9
	v_lshrrev_b16 v101, 2, v9
	s_delay_alu instid0(VALU_DEP_1) | instskip(NEXT) | instid1(VALU_DEP_1)
	v_mul_lo_u16 v9, v101, 7
	v_sub_nc_u16 v9, v223, v9
	s_delay_alu instid0(VALU_DEP_1) | instskip(NEXT) | instid1(VALU_DEP_1)
	v_dual_fmac_f32 v208, v11, v52 :: v_dual_and_b32 v9, 0xff, v9
	v_sub_f32_e32 v226, v164, v208
	scratch_store_b32 off, v9, off offset:364 ; 4-byte Folded Spill
	v_mul_u32_u24_e32 v9, 10, v9
	s_delay_alu instid0(VALU_DEP_1) | instskip(SKIP_4) | instid1(VALU_DEP_1)
	v_lshlrev_b32_e32 v21, 3, v9
	s_clause 0x1
	global_load_b128 v[76:79], v20, s[10:11] offset:64
	global_load_b128 v[10:13], v21, s[10:11]
	v_mul_f32_e32 v9, v5, v65
	v_fma_f32 v148, v4, v64, -v9
	s_waitcnt vmcnt(1)
	v_mul_f32_e32 v127, v6, v77
	s_waitcnt vmcnt(0)
	v_dual_mul_f32 v100, v2, v11 :: v_dual_mul_f32 v9, v16, v13
	v_mul_f32_e32 v4, v7, v77
	scratch_store_b128 off, v[10:13], off offset:540 ; 16-byte Folded Spill
	v_fmac_f32_e32 v127, v7, v76
	v_dual_fmac_f32 v100, v3, v10 :: v_dual_fmac_f32 v9, v17, v12
	v_fma_f32 v128, v6, v76, -v4
	v_mul_f32_e32 v4, v3, v11
	s_clause 0x1
	global_load_b128 v[26:29], v21, s[10:11] offset:16
	global_load_b128 v[22:25], v21, s[10:11] offset:32
	v_mul_f32_e32 v3, v83, v31
	v_fma_f32 v7, v2, v10, -v4
	v_mul_f32_e32 v2, v17, v13
	s_delay_alu instid0(VALU_DEP_3) | instskip(NEXT) | instid1(VALU_DEP_2)
	v_fma_f32 v3, v82, v30, -v3
	v_fma_f32 v6, v16, v12, -v2
	s_waitcnt vmcnt(0)
	v_dual_mul_f32 v2, v19, v27 :: v_dual_mul_f32 v13, v88, v25
	s_waitcnt lgkmcnt(0)
	v_dual_mul_f32 v17, v18, v27 :: v_dual_mul_f32 v16, v96, v29
	v_mul_f32_e32 v15, v98, v23
	s_delay_alu instid0(VALU_DEP_3) | instskip(NEXT) | instid1(VALU_DEP_3)
	v_fma_f32 v14, v18, v26, -v2
	v_dual_mul_f32 v2, v97, v29 :: v_dual_fmac_f32 v17, v19, v26
	s_delay_alu instid0(VALU_DEP_3) | instskip(SKIP_1) | instid1(VALU_DEP_3)
	v_dual_fmac_f32 v16, v97, v28 :: v_dual_fmac_f32 v15, v99, v22
	v_fmac_f32_e32 v13, v89, v24
	v_fma_f32 v12, v96, v28, -v2
	v_mul_f32_e32 v2, v99, v23
	s_clause 0x1
	scratch_store_b128 off, v[26:29], off offset:508
	scratch_store_b128 off, v[22:25], off offset:492
	v_fma_f32 v11, v98, v22, -v2
	v_mul_f32_e32 v2, v89, v25
	s_delay_alu instid0(VALU_DEP_1)
	v_fma_f32 v10, v88, v24, -v2
	s_clause 0x1
	global_load_b128 v[22:25], v21, s[10:11] offset:48
	global_load_b128 v[26:29], v21, s[10:11] offset:64
	scratch_store_b128 off, v[30:33], off offset:368 ; 16-byte Folded Spill
	s_waitcnt vmcnt(1)
	v_mul_f32_e32 v2, v91, v23
	s_waitcnt vmcnt(0)
	v_mul_f32_e32 v89, v94, v27
	v_mul_f32_e32 v96, v90, v23
	scratch_store_b128 off, v[22:25], off offset:524 ; 16-byte Folded Spill
	s_waitcnt_vscnt null, 0x0
	v_fma_f32 v88, v90, v22, -v2
	v_mul_f32_e32 v2, v93, v25
	v_dual_mul_f32 v90, v92, v25 :: v_dual_fmac_f32 v89, v95, v26
	s_barrier
	buffer_gl0_inv
	v_fma_f32 v19, v92, v24, -v2
	v_mul_f32_e32 v2, v95, v27
	scratch_store_b128 off, v[26:29], off offset:556 ; 16-byte Folded Spill
	v_fma_f32 v18, v94, v26, -v2
	v_mul_f32_e32 v2, v82, v31
	s_delay_alu instid0(VALU_DEP_1) | instskip(SKIP_1) | instid1(VALU_DEP_2)
	v_fmac_f32_e32 v2, v83, v30
	v_fmac_f32_e32 v90, v93, v24
	v_sub_f32_e32 v4, v2, v189
	s_delay_alu instid0(VALU_DEP_1)
	v_dual_fmac_f32 v96, v91, v22 :: v_dual_mul_f32 v91, 0xbf7d64f0, v4
	v_mul_f32_e32 v93, 0xbf0a6770, v4
	v_mul_f32_e32 v92, 0xbf68dda4, v4
	;; [unrolled: 1-line block ×4, first 2 shown]
	v_add_f32_e32 v4, v3, v188
	s_delay_alu instid0(VALU_DEP_1)
	v_fma_f32 v5, 0x3f575c64, v4, -v93
	v_fmac_f32_e32 v93, 0x3f575c64, v4
	v_fma_f32 v20, 0x3ed4b147, v4, -v92
	v_fmac_f32_e32 v92, 0x3ed4b147, v4
	v_fma_f32 v21, 0xbe11bafb, v4, -v91
	v_add_f32_e32 v5, v84, v5
	v_fmac_f32_e32 v91, 0xbe11bafb, v4
	v_fma_f32 v22, 0xbf27a4f4, v4, -v83
	v_fma_f32 v23, 0xbf75a155, v4, -v82
	v_dual_fmac_f32 v82, 0xbf75a155, v4 :: v_dual_add_f32 v99, v2, v189
	v_fmac_f32_e32 v83, 0xbf27a4f4, v4
	v_dual_sub_f32 v4, v3, v188 :: v_dual_add_f32 v195, v84, v21
	v_dual_add_f32 v163, v84, v91 :: v_dual_add_f32 v2, v85, v2
	v_add_f32_e32 v181, v84, v23
	s_delay_alu instid0(VALU_DEP_3) | instskip(SKIP_3) | instid1(VALU_DEP_4)
	v_mul_f32_e32 v97, 0xbf7d64f0, v4
	v_mul_f32_e32 v94, 0xbf0a6770, v4
	;; [unrolled: 1-line block ×3, first 2 shown]
	v_dual_add_f32 v201, v84, v20 :: v_dual_mul_f32 v20, v115, v79
	v_fmamk_f32 v153, v99, 0xbe11bafb, v97
	v_mul_f32_e32 v98, 0xbf4178ce, v4
	v_mul_f32_e32 v4, 0xbe903f40, v4
	v_fmamk_f32 v151, v99, 0x3f575c64, v94
	v_fma_f32 v94, 0x3f575c64, v99, -v94
	v_fmamk_f32 v152, v99, 0x3ed4b147, v95
	v_fma_f32 v95, 0x3ed4b147, v99, -v95
	v_fma_f32 v97, 0xbe11bafb, v99, -v97
	v_fmamk_f32 v155, v99, 0xbf75a155, v4
	v_dual_add_f32 v193, v85, v153 :: v_dual_fmamk_f32 v154, v99, 0xbf27a4f4, v98
	v_fma_f32 v98, 0xbf27a4f4, v99, -v98
	v_fma_f32 v99, 0xbf75a155, v99, -v4
	v_sub_f32_e32 v4, v150, v140
	v_add_f32_e32 v162, v85, v97
	v_add_f32_e32 v185, v85, v154
	v_add_f32_e32 v171, v85, v98
	s_delay_alu instid0(VALU_DEP_4)
	v_dual_add_f32 v179, v85, v155 :: v_dual_mul_f32 v176, 0xbf0a6770, v4
	v_mul_f32_e32 v180, 0xbf68dda4, v4
	v_mul_f32_e32 v182, 0xbf7d64f0, v4
	;; [unrolled: 1-line block ×4, first 2 shown]
	v_add_f32_e32 v4, v149, v139
	v_add_f32_e32 v166, v85, v95
	;; [unrolled: 1-line block ×3, first 2 shown]
	v_fma_f32 v83, v114, v78, -v20
	v_add_f32_e32 v3, v84, v3
	v_fma_f32 v156, 0x3f575c64, v4, -v176
	v_dual_fmac_f32 v176, 0x3f575c64, v4 :: v_dual_add_f32 v169, v85, v99
	v_fma_f32 v191, 0x3ed4b147, v4, -v180
	v_fmac_f32_e32 v180, 0x3ed4b147, v4
	v_fma_f32 v198, 0xbe11bafb, v4, -v182
	v_fmac_f32_e32 v182, 0xbe11bafb, v4
	;; [unrolled: 2-line block ×3, first 2 shown]
	v_fma_f32 v202, 0xbf75a155, v4, -v190
	v_dual_fmac_f32 v190, 0xbf75a155, v4 :: v_dual_add_f32 v155, v86, v191
	v_dual_sub_f32 v4, v149, v139 :: v_dual_add_f32 v153, v86, v198
	v_add_f32_e32 v200, v85, v152
	v_add_f32_e32 v186, v84, v22
	s_delay_alu instid0(VALU_DEP_3) | instskip(SKIP_3) | instid1(VALU_DEP_4)
	v_dual_add_f32 v95, v86, v190 :: v_dual_mul_f32 v158, 0xbf68dda4, v4
	v_mul_f32_e32 v159, 0xbf7d64f0, v4
	v_mul_f32_e32 v157, 0xbf0a6770, v4
	v_dual_mul_f32 v160, 0xbf4178ce, v4 :: v_dual_add_f32 v3, v3, v165
	v_fma_f32 v209, 0x3ed4b147, v161, -v158
	s_delay_alu instid0(VALU_DEP_4)
	v_fma_f32 v214, 0xbe11bafb, v161, -v159
	v_mul_f32_e32 v4, 0xbe903f40, v4
	v_fmamk_f32 v213, v161, 0xbe11bafb, v159
	v_fmamk_f32 v215, v161, 0xbf27a4f4, v160
	v_fma_f32 v216, 0xbf27a4f4, v161, -v160
	v_dual_add_f32 v160, v84, v93 :: v_dual_fmamk_f32 v203, v161, 0x3f575c64, v157
	v_fma_f32 v206, 0x3f575c64, v161, -v157
	v_add_f32_e32 v93, v87, v209
	v_fmamk_f32 v207, v161, 0x3ed4b147, v158
	v_add_f32_e32 v91, v87, v214
	v_fmamk_f32 v217, v161, 0xbf75a155, v4
	v_fma_f32 v218, 0xbf75a155, v161, -v4
	v_add_f32_e32 v161, v85, v94
	v_dual_add_f32 v170, v84, v82 :: v_dual_add_f32 v157, v86, v156
	v_mul_f32_e32 v82, v114, v79
	v_dual_add_f32 v158, v86, v149 :: v_dual_add_f32 v159, v87, v150
	v_dual_add_f32 v4, v85, v151 :: v_dual_add_f32 v167, v84, v92
	v_add_f32_e32 v156, v87, v203
	s_delay_alu instid0(VALU_DEP_4) | instskip(SKIP_3) | instid1(VALU_DEP_4)
	v_fmac_f32_e32 v82, v115, v78
	v_dual_add_f32 v84, v86, v176 :: v_dual_add_f32 v99, v87, v217
	v_add_f32_e32 v85, v87, v206
	v_dual_add_f32 v154, v87, v207 :: v_dual_add_f32 v149, v86, v202
	v_sub_f32_e32 v20, v175, v82
	v_add_f32_e32 v94, v86, v180
	v_add_f32_e32 v152, v87, v213
	v_dual_add_f32 v92, v86, v182 :: v_dual_add_f32 v97, v87, v216
	v_add_f32_e32 v151, v86, v199
	v_add_f32_e32 v150, v87, v215
	v_dual_add_f32 v98, v86, v187 :: v_dual_mul_f32 v23, 0xbf7d64f0, v20
	v_dual_add_f32 v86, v87, v218 :: v_dual_add_f32 v87, v168, v83
	v_add_f32_e32 v215, v80, v168
	v_dual_add_f32 v3, v3, v197 :: v_dual_add_f32 v216, v81, v175
	s_delay_alu instid0(VALU_DEP_3)
	v_fma_f32 v187, 0xbe11bafb, v87, -v23
	v_fmac_f32_e32 v23, 0xbe11bafb, v87
	v_mul_f32_e32 v115, 0xbf4178ce, v20
	v_mul_f32_e32 v21, 0xbf0a6770, v20
	;; [unrolled: 1-line block ×3, first 2 shown]
	v_dual_mul_f32 v20, 0xbe903f40, v20 :: v_dual_add_f32 v3, v3, v178
	s_delay_alu instid0(VALU_DEP_4) | instskip(NEXT) | instid1(VALU_DEP_4)
	v_fma_f32 v190, 0xbf27a4f4, v87, -v115
	v_fma_f32 v114, 0x3f575c64, v87, -v21
	v_fmac_f32_e32 v21, 0x3f575c64, v87
	v_fma_f32 v176, 0x3ed4b147, v87, -v22
	v_fmac_f32_e32 v22, 0x3ed4b147, v87
	v_dual_fmac_f32 v115, 0xbf27a4f4, v87 :: v_dual_add_f32 v202, v175, v82
	v_fma_f32 v198, 0xbf75a155, v87, -v20
	v_fmac_f32_e32 v20, 0xbf75a155, v87
	v_sub_f32_e32 v87, v168, v83
	v_add_f32_e32 v213, v80, v176
	v_add_f32_e32 v214, v80, v114
	v_dual_add_f32 v176, v80, v23 :: v_dual_add_f32 v3, v3, v194
	s_delay_alu instid0(VALU_DEP_4) | instskip(SKIP_2) | instid1(VALU_DEP_4)
	v_mul_f32_e32 v180, 0xbf0a6770, v87
	v_mul_f32_e32 v182, 0xbf68dda4, v87
	;; [unrolled: 1-line block ×3, first 2 shown]
	v_add_f32_e32 v3, v3, v174
	s_delay_alu instid0(VALU_DEP_4)
	v_fmamk_f32 v203, v202, 0x3f575c64, v180
	v_fma_f32 v180, 0x3f575c64, v202, -v180
	v_mul_f32_e32 v199, 0xbf4178ce, v87
	v_mul_f32_e32 v87, 0xbe903f40, v87
	v_fmamk_f32 v206, v202, 0x3ed4b147, v182
	v_fmamk_f32 v217, v202, 0xbe11bafb, v191
	v_fma_f32 v191, 0xbe11bafb, v202, -v191
	s_delay_alu instid0(VALU_DEP_4)
	v_dual_add_f32 v168, v81, v180 :: v_dual_fmamk_f32 v219, v202, 0xbf75a155, v87
	v_fma_f32 v220, 0xbf75a155, v202, -v87
	v_add_f32_e32 v87, v80, v21
	v_add_f32_e32 v209, v81, v206
	v_fma_f32 v207, 0x3ed4b147, v202, -v182
	v_add_f32_e32 v182, v80, v22
	v_dual_fmamk_f32 v218, v202, 0xbf27a4f4, v199 :: v_dual_add_f32 v175, v81, v191
	v_fma_f32 v199, 0xbf27a4f4, v202, -v199
	v_dual_add_f32 v114, v81, v203 :: v_dual_add_f32 v203, v80, v190
	v_add_f32_e32 v180, v81, v207
	v_add_f32_e32 v207, v80, v187
	s_delay_alu instid0(VALU_DEP_4)
	v_dual_add_f32 v190, v81, v199 :: v_dual_add_f32 v199, v80, v198
	v_add_f32_e32 v198, v81, v219
	v_dual_add_f32 v206, v81, v217 :: v_dual_add_f32 v191, v80, v115
	v_dual_add_f32 v202, v81, v218 :: v_dual_add_f32 v187, v80, v20
	v_add_f32_e32 v80, v81, v220
	v_dual_add_f32 v2, v2, v164 :: v_dual_add_f32 v3, v3, v205
	v_add_f32_e32 v81, v165, v212
	v_sub_f32_e32 v217, v177, v204
	v_add_f32_e32 v115, v164, v208
	s_delay_alu instid0(VALU_DEP_4) | instskip(SKIP_2) | instid1(VALU_DEP_2)
	v_add_f32_e32 v2, v2, v196
	v_add_f32_e32 v3, v3, v184
	;; [unrolled: 1-line block ×3, first 2 shown]
	v_dual_add_f32 v2, v2, v177 :: v_dual_add_f32 v3, v3, v212
	v_dual_sub_f32 v212, v165, v212 :: v_dual_add_f32 v165, v178, v205
	v_sub_f32_e32 v205, v178, v205
	s_delay_alu instid0(VALU_DEP_3) | instskip(SKIP_1) | instid1(VALU_DEP_4)
	v_add_f32_e32 v2, v2, v192
	v_dual_add_f32 v178, v177, v204 :: v_dual_mul_f32 v177, 0xbf68dda4, v226
	v_mul_f32_e32 v21, 0xbf4178ce, v212
	v_mul_f32_e32 v22, 0x3e903f40, v225
	s_delay_alu instid0(VALU_DEP_4) | instskip(SKIP_1) | instid1(VALU_DEP_2)
	v_add_f32_e32 v2, v2, v173
	v_dual_add_f32 v173, v192, v173 :: v_dual_mul_f32 v218, 0x3e903f40, v226
	v_dual_mul_f32 v233, 0xbe903f40, v205 :: v_dual_add_f32 v2, v2, v204
	v_mul_f32_e32 v204, 0xbf4178ce, v205
	s_delay_alu instid0(VALU_DEP_2) | instskip(NEXT) | instid1(VALU_DEP_1)
	v_add_f32_e32 v2, v2, v183
	v_add_f32_e32 v20, v2, v208
	;; [unrolled: 1-line block ×3, first 2 shown]
	v_sub_f32_e32 v208, v197, v184
	v_add_f32_e32 v184, v196, v183
	v_dual_mul_f32 v188, 0xbf68dda4, v212 :: v_dual_add_f32 v197, v194, v174
	v_mul_f32_e32 v183, 0xbf7d64f0, v225
	v_add_f32_e32 v3, v20, v189
	v_fma_f32 v20, 0x3ed4b147, v81, -v177
	v_sub_f32_e32 v194, v194, v174
	v_mul_f32_e32 v174, 0xbe903f40, v227
	v_mul_f32_e32 v234, 0x3f68dda4, v227
	v_fmac_f32_e32 v177, 0x3ed4b147, v81
	v_add_f32_e32 v5, v20, v5
	v_mul_f32_e32 v235, 0x3f68dda4, v194
	v_fmamk_f32 v20, v115, 0x3ed4b147, v188
	v_mul_f32_e32 v189, 0xbf4178ce, v217
	v_mul_f32_e32 v196, 0xbf7d64f0, v208
	;; [unrolled: 1-line block ×4, first 2 shown]
	v_add_f32_e32 v4, v20, v4
	v_fma_f32 v20, 0xbe11bafb, v164, -v183
	v_mul_f32_e32 v231, 0xbf0a6770, v208
	v_mul_f32_e32 v232, 0xbe903f40, v217
	s_delay_alu instid0(VALU_DEP_3) | instskip(SKIP_1) | instid1(VALU_DEP_1)
	v_add_f32_e32 v5, v20, v5
	v_dual_fmamk_f32 v20, v184, 0xbe11bafb, v196 :: v_dual_fmac_f32 v183, 0xbe11bafb, v164
	v_add_f32_e32 v4, v20, v4
	v_fma_f32 v20, 0xbf27a4f4, v165, -v189
	v_fmac_f32_e32 v189, 0xbf27a4f4, v165
	s_delay_alu instid0(VALU_DEP_2) | instskip(NEXT) | instid1(VALU_DEP_1)
	v_dual_add_f32 v5, v20, v5 :: v_dual_fmamk_f32 v20, v178, 0xbf27a4f4, v204
	v_add_f32_e32 v20, v20, v4
	v_fma_f32 v4, 0xbf75a155, v197, -v174
	s_delay_alu instid0(VALU_DEP_1) | instskip(NEXT) | instid1(VALU_DEP_1)
	v_dual_add_f32 v4, v4, v5 :: v_dual_fmamk_f32 v5, v173, 0xbf75a155, v192
	v_dual_add_f32 v5, v5, v20 :: v_dual_and_b32 v20, 0xffff, v129
	v_mul_f32_e32 v129, 0x3f7d64f0, v217
	s_delay_alu instid0(VALU_DEP_2) | instskip(NEXT) | instid1(VALU_DEP_1)
	v_mul_u32_u24_e32 v20, 0x4d, v20
	v_add_lshl_u32 v24, v20, v135, 3
	v_mul_f32_e32 v20, 0xbf4178ce, v226
	v_mul_f32_e32 v135, 0x3f7d64f0, v205
	ds_store_2addr_b64 v24, v[2:3], v[4:5] offset1:7
	v_fma_f32 v2, 0xbf27a4f4, v81, -v20
	v_fma_f32 v4, 0xbf75a155, v164, -v22
	scratch_store_b32 off, v24, off offset:444 ; 4-byte Folded Spill
	v_dual_add_f32 v2, v2, v201 :: v_dual_mul_f32 v201, 0x3f0a6770, v194
	s_delay_alu instid0(VALU_DEP_1) | instskip(NEXT) | instid1(VALU_DEP_1)
	v_dual_add_f32 v2, v4, v2 :: v_dual_fmamk_f32 v3, v115, 0xbf27a4f4, v21
	v_dual_fmamk_f32 v4, v184, 0xbf75a155, v23 :: v_dual_add_f32 v3, v3, v200
	v_mul_f32_e32 v200, 0x3f0a6770, v227
	s_delay_alu instid0(VALU_DEP_2) | instskip(SKIP_1) | instid1(VALU_DEP_1)
	v_add_f32_e32 v3, v4, v3
	v_fma_f32 v4, 0xbe11bafb, v165, -v129
	v_dual_fmac_f32 v129, 0xbe11bafb, v165 :: v_dual_add_f32 v2, v4, v2
	v_fmamk_f32 v4, v178, 0xbe11bafb, v135
	s_delay_alu instid0(VALU_DEP_1) | instskip(SKIP_1) | instid1(VALU_DEP_1)
	v_add_f32_e32 v3, v4, v3
	v_fma_f32 v4, 0x3f575c64, v197, -v200
	v_add_f32_e32 v2, v4, v2
	v_fmamk_f32 v4, v173, 0x3f575c64, v201
	s_delay_alu instid0(VALU_DEP_1) | instskip(SKIP_1) | instid1(VALU_DEP_1)
	v_add_f32_e32 v3, v4, v3
	v_fma_f32 v4, 0xbf75a155, v81, -v218
	v_dual_add_f32 v4, v4, v195 :: v_dual_mul_f32 v195, 0x3e903f40, v212
	s_delay_alu instid0(VALU_DEP_1) | instskip(NEXT) | instid1(VALU_DEP_1)
	v_fmamk_f32 v5, v115, 0xbf75a155, v195
	v_add_f32_e32 v5, v5, v193
	v_mul_f32_e32 v193, 0x3f68dda4, v225
	v_fmac_f32_e32 v174, 0xbf75a155, v197
	s_delay_alu instid0(VALU_DEP_2) | instskip(SKIP_1) | instid1(VALU_DEP_2)
	v_fma_f32 v219, 0x3ed4b147, v164, -v193
	v_fmac_f32_e32 v193, 0x3ed4b147, v164
	v_add_f32_e32 v4, v219, v4
	v_mul_f32_e32 v219, 0x3f68dda4, v208
	v_mul_f32_e32 v208, 0xbf4178ce, v208
	s_delay_alu instid0(VALU_DEP_2) | instskip(NEXT) | instid1(VALU_DEP_1)
	v_fmamk_f32 v220, v184, 0x3ed4b147, v219
	v_add_f32_e32 v5, v220, v5
	v_mul_f32_e32 v220, 0xbf0a6770, v217
	v_fmac_f32_e32 v20, 0xbf27a4f4, v81
	s_delay_alu instid0(VALU_DEP_2) | instskip(SKIP_1) | instid1(VALU_DEP_2)
	v_fma_f32 v221, 0x3f575c64, v165, -v220
	v_fmac_f32_e32 v220, 0x3f575c64, v165
	v_dual_add_f32 v4, v221, v4 :: v_dual_mul_f32 v221, 0xbf0a6770, v205
	v_mul_f32_e32 v205, 0x3f68dda4, v205
	s_delay_alu instid0(VALU_DEP_2) | instskip(NEXT) | instid1(VALU_DEP_1)
	v_fmamk_f32 v228, v178, 0x3f575c64, v221
	v_dual_add_f32 v5, v228, v5 :: v_dual_mul_f32 v228, 0xbf4178ce, v227
	s_delay_alu instid0(VALU_DEP_1) | instskip(NEXT) | instid1(VALU_DEP_1)
	v_fma_f32 v229, 0xbf27a4f4, v197, -v228
	v_dual_add_f32 v4, v229, v4 :: v_dual_mul_f32 v229, 0xbf4178ce, v194
	v_mul_f32_e32 v194, 0xbf7d64f0, v194
	s_delay_alu instid0(VALU_DEP_2) | instskip(NEXT) | instid1(VALU_DEP_1)
	v_fmamk_f32 v230, v173, 0xbf27a4f4, v229
	v_dual_add_f32 v5, v230, v5 :: v_dual_mul_f32 v230, 0x3f7d64f0, v226
	v_mul_f32_e32 v226, 0x3f0a6770, v226
	ds_store_2addr_b64 v24, v[2:3], v[4:5] offset0:14 offset1:21
	v_fma_f32 v2, 0xbe11bafb, v81, -v230
	s_delay_alu instid0(VALU_DEP_1) | instskip(SKIP_1) | instid1(VALU_DEP_1)
	v_add_f32_e32 v2, v2, v186
	v_mul_f32_e32 v186, 0x3f7d64f0, v212
	v_fmamk_f32 v3, v115, 0xbe11bafb, v186
	s_delay_alu instid0(VALU_DEP_1) | instskip(SKIP_2) | instid1(VALU_DEP_2)
	v_add_f32_e32 v3, v3, v185
	v_mul_f32_e32 v185, 0xbf0a6770, v225
	v_fmac_f32_e32 v200, 0x3f575c64, v197
	v_fma_f32 v4, 0x3f575c64, v164, -v185
	s_delay_alu instid0(VALU_DEP_1) | instskip(SKIP_1) | instid1(VALU_DEP_1)
	v_add_f32_e32 v2, v4, v2
	v_fmamk_f32 v4, v184, 0x3f575c64, v231
	v_add_f32_e32 v3, v4, v3
	v_fma_f32 v4, 0xbf75a155, v165, -v232
	v_fmac_f32_e32 v218, 0xbf75a155, v81
	s_delay_alu instid0(VALU_DEP_2) | instskip(SKIP_1) | instid1(VALU_DEP_1)
	v_add_f32_e32 v2, v4, v2
	v_fmamk_f32 v4, v178, 0xbf75a155, v233
	v_add_f32_e32 v3, v4, v3
	v_fma_f32 v4, 0x3ed4b147, v197, -v234
	v_fmac_f32_e32 v234, 0x3ed4b147, v197
	s_delay_alu instid0(VALU_DEP_2) | instskip(SKIP_1) | instid1(VALU_DEP_1)
	v_add_f32_e32 v2, v4, v2
	v_fmamk_f32 v4, v173, 0x3ed4b147, v235
	v_add_f32_e32 v3, v4, v3
	v_fma_f32 v4, 0x3f575c64, v81, -v226
	s_delay_alu instid0(VALU_DEP_1) | instskip(NEXT) | instid1(VALU_DEP_1)
	v_dual_add_f32 v4, v4, v181 :: v_dual_mul_f32 v181, 0x3f0a6770, v212
	v_fmamk_f32 v5, v115, 0x3f575c64, v181
	s_delay_alu instid0(VALU_DEP_1) | instskip(SKIP_2) | instid1(VALU_DEP_2)
	v_add_f32_e32 v5, v5, v179
	v_mul_f32_e32 v179, 0xbf4178ce, v225
	v_fmac_f32_e32 v228, 0xbf27a4f4, v197
	v_fma_f32 v212, 0xbf27a4f4, v164, -v179
	v_fmac_f32_e32 v179, 0xbf27a4f4, v164
	s_delay_alu instid0(VALU_DEP_2) | instskip(SKIP_1) | instid1(VALU_DEP_1)
	v_add_f32_e32 v4, v212, v4
	v_fmamk_f32 v212, v184, 0xbf27a4f4, v208
	v_add_f32_e32 v5, v212, v5
	v_mul_f32_e32 v212, 0x3f68dda4, v217
	s_delay_alu instid0(VALU_DEP_1) | instskip(SKIP_1) | instid1(VALU_DEP_2)
	v_fma_f32 v217, 0x3ed4b147, v165, -v212
	v_fmac_f32_e32 v212, 0x3ed4b147, v165
	v_dual_add_f32 v4, v217, v4 :: v_dual_fmamk_f32 v217, v178, 0x3ed4b147, v205
	s_delay_alu instid0(VALU_DEP_1) | instskip(SKIP_2) | instid1(VALU_DEP_2)
	v_add_f32_e32 v5, v217, v5
	v_mul_f32_e32 v217, 0xbf7d64f0, v227
	v_fmac_f32_e32 v230, 0xbe11bafb, v81
	v_fma_f32 v225, 0xbe11bafb, v197, -v217
	s_delay_alu instid0(VALU_DEP_1) | instskip(SKIP_1) | instid1(VALU_DEP_1)
	v_dual_fmac_f32 v217, 0xbe11bafb, v197 :: v_dual_add_f32 v4, v225, v4
	v_fmamk_f32 v225, v173, 0xbe11bafb, v194
	v_add_f32_e32 v5, v225, v5
	ds_store_2addr_b64 v24, v[2:3], v[4:5] offset0:28 offset1:35
	v_add_f32_e32 v2, v230, v172
	v_fma_f32 v3, 0xbe11bafb, v115, -v186
	v_fma_f32 v4, 0x3f575c64, v184, -v231
	v_fma_f32 v5, 0x3f575c64, v115, -v181
	s_delay_alu instid0(VALU_DEP_3) | instskip(NEXT) | instid1(VALU_DEP_2)
	v_add_f32_e32 v3, v3, v171
	v_add_f32_e32 v5, v5, v169
	s_delay_alu instid0(VALU_DEP_2) | instskip(SKIP_2) | instid1(VALU_DEP_1)
	v_dual_add_f32 v3, v4, v3 :: v_dual_fmac_f32 v232, 0xbf75a155, v165
	v_fmac_f32_e32 v185, 0x3f575c64, v164
	v_fma_f32 v4, 0xbf75a155, v178, -v233
	v_dual_add_f32 v2, v185, v2 :: v_dual_add_f32 v3, v4, v3
	v_fma_f32 v4, 0x3ed4b147, v173, -v235
	v_fmac_f32_e32 v226, 0x3f575c64, v81
	s_delay_alu instid0(VALU_DEP_3) | instskip(NEXT) | instid1(VALU_DEP_3)
	v_add_f32_e32 v2, v232, v2
	v_add_f32_e32 v3, v4, v3
	v_fma_f32 v169, 0xbf27a4f4, v184, -v208
	s_delay_alu instid0(VALU_DEP_1) | instskip(SKIP_1) | instid1(VALU_DEP_1)
	v_dual_add_f32 v2, v234, v2 :: v_dual_add_f32 v5, v169, v5
	v_fma_f32 v169, 0x3ed4b147, v178, -v205
	v_dual_add_f32 v4, v226, v170 :: v_dual_add_f32 v5, v169, v5
	v_fma_f32 v169, 0xbe11bafb, v173, -v194
	s_delay_alu instid0(VALU_DEP_1) | instskip(NEXT) | instid1(VALU_DEP_1)
	v_dual_add_f32 v4, v179, v4 :: v_dual_add_f32 v5, v169, v5
	v_add_f32_e32 v4, v212, v4
	s_delay_alu instid0(VALU_DEP_1)
	v_add_f32_e32 v4, v217, v4
	ds_store_2addr_b64 v24, v[4:5], v[2:3] offset0:42 offset1:49
	v_fma_f32 v3, 0xbf27a4f4, v115, -v21
	v_fma_f32 v4, 0xbf75a155, v184, -v23
	v_fma_f32 v5, 0xbf75a155, v115, -v195
	v_add_f32_e32 v2, v20, v167
	v_fma_f32 v20, 0x3ed4b147, v184, -v219
	v_add_f32_e32 v3, v3, v166
	v_add_f32_e32 v23, v134, v147
	;; [unrolled: 1-line block ×3, first 2 shown]
	v_sub_f32_e32 v21, v136, v148
	s_delay_alu instid0(VALU_DEP_4) | instskip(SKIP_1) | instid1(VALU_DEP_4)
	v_add_f32_e32 v3, v4, v3
	v_fma_f32 v4, 0xbe11bafb, v178, -v135
	v_add_f32_e32 v5, v20, v5
	v_fma_f32 v20, 0x3f575c64, v178, -v221
	v_dual_fmac_f32 v22, 0xbf75a155, v164 :: v_dual_sub_f32 v135, v144, v138
	s_delay_alu instid0(VALU_DEP_4) | instskip(SKIP_1) | instid1(VALU_DEP_4)
	v_add_f32_e32 v3, v4, v3
	v_fma_f32 v4, 0x3f575c64, v173, -v201
	v_add_f32_e32 v5, v20, v5
	v_fma_f32 v20, 0xbf27a4f4, v173, -v229
	v_add_f32_e32 v2, v22, v2
	v_sub_f32_e32 v22, v134, v147
	v_add_f32_e32 v3, v4, v3
	s_delay_alu instid0(VALU_DEP_4) | instskip(NEXT) | instid1(VALU_DEP_4)
	v_dual_add_f32 v4, v218, v163 :: v_dual_add_f32 v5, v20, v5
	v_add_f32_e32 v2, v129, v2
	s_delay_alu instid0(VALU_DEP_4) | instskip(NEXT) | instid1(VALU_DEP_3)
	v_dual_add_f32 v20, v136, v148 :: v_dual_mul_f32 v81, 0xbf68dda4, v22
	v_dual_add_f32 v4, v193, v4 :: v_dual_mul_f32 v165, 0xbf0a6770, v135
	s_delay_alu instid0(VALU_DEP_3) | instskip(NEXT) | instid1(VALU_DEP_2)
	v_add_f32_e32 v2, v200, v2
	v_add_f32_e32 v4, v220, v4
	s_delay_alu instid0(VALU_DEP_1)
	v_add_f32_e32 v4, v228, v4
	ds_store_2addr_b64 v24, v[4:5], v[2:3] offset0:56 offset1:63
	v_fma_f32 v2, 0x3ed4b147, v115, -v188
	v_fma_f32 v3, 0xbe11bafb, v184, -v196
	v_add_f32_e32 v4, v177, v160
	v_fma_f32 v5, 0xbf27a4f4, v178, -v204
	v_fma_f32 v115, 0x3ed4b147, v20, -v81
	v_add_f32_e32 v2, v2, v161
	s_delay_alu instid0(VALU_DEP_4) | instskip(NEXT) | instid1(VALU_DEP_3)
	v_add_f32_e32 v4, v183, v4
	v_add_f32_e32 v115, v115, v157
	s_delay_alu instid0(VALU_DEP_2) | instskip(NEXT) | instid1(VALU_DEP_1)
	v_dual_add_f32 v2, v3, v2 :: v_dual_add_f32 v3, v189, v4
	v_add_f32_e32 v4, v5, v2
	v_fma_f32 v5, 0xbf75a155, v173, -v192
	s_delay_alu instid0(VALU_DEP_1) | instskip(SKIP_3) | instid1(VALU_DEP_3)
	v_dual_add_f32 v2, v174, v3 :: v_dual_add_f32 v3, v5, v4
	v_dual_add_f32 v4, v158, v136 :: v_dual_add_f32 v5, v159, v134
	v_mul_f32_e32 v134, 0xbf68dda4, v21
	v_add_f32_e32 v136, v144, v138
	v_dual_add_f32 v4, v4, v144 :: v_dual_add_f32 v5, v5, v143
	s_delay_alu instid0(VALU_DEP_3) | instskip(SKIP_4) | instid1(VALU_DEP_3)
	v_fmamk_f32 v129, v23, 0x3ed4b147, v134
	ds_store_b64 v24, v[2:3] offset:560
	v_and_b32_e32 v2, 0xffff, v119
	v_dual_add_f32 v4, v4, v132 :: v_dual_add_f32 v5, v5, v130
	v_add_f32_e32 v129, v129, v156
	v_mul_u32_u24_e32 v2, 0x4d, v2
	s_delay_alu instid0(VALU_DEP_3) | instskip(NEXT) | instid1(VALU_DEP_2)
	v_dual_add_f32 v4, v4, v142 :: v_dual_add_f32 v5, v5, v141
	v_add_lshl_u32 v24, v2, v120, 3
	s_delay_alu instid0(VALU_DEP_2)
	v_dual_add_f32 v4, v4, v133 :: v_dual_add_f32 v5, v5, v131
	v_mul_f32_e32 v120, 0xbf4178ce, v21
	v_sub_f32_e32 v144, v130, v145
	scratch_store_b32 off, v24, off offset:460 ; 4-byte Folded Spill
	v_dual_add_f32 v4, v4, v146 :: v_dual_add_f32 v5, v5, v145
	v_add_f32_e32 v145, v130, v145
	v_fmamk_f32 v3, v23, 0xbf27a4f4, v120
	v_mul_f32_e32 v166, 0xbe903f40, v144
	s_delay_alu instid0(VALU_DEP_4) | instskip(SKIP_2) | instid1(VALU_DEP_3)
	v_dual_add_f32 v4, v4, v138 :: v_dual_add_f32 v5, v5, v137
	v_sub_f32_e32 v138, v143, v137
	v_add_f32_e32 v137, v143, v137
	v_dual_add_f32 v3, v3, v154 :: v_dual_add_f32 v4, v4, v148
	v_add_f32_e32 v148, v142, v133
	v_sub_f32_e32 v133, v142, v133
	v_add_f32_e32 v5, v5, v147
	v_sub_f32_e32 v142, v141, v131
	v_dual_add_f32 v131, v141, v131 :: v_dual_mul_f32 v154, 0x3f7d64f0, v144
	s_delay_alu instid0(VALU_DEP_4) | instskip(NEXT) | instid1(VALU_DEP_3)
	v_dual_mul_f32 v157, 0x3f0a6770, v133 :: v_dual_add_f32 v4, v4, v139
	v_mul_f32_e32 v141, 0xbe903f40, v142
	v_mul_f32_e32 v139, 0xbf7d64f0, v138
	v_add_f32_e32 v5, v5, v140
	v_dual_mul_f32 v169, 0x3f68dda4, v142 :: v_dual_mul_f32 v170, 0x3f68dda4, v133
	v_fmac_f32_e32 v81, 0x3ed4b147, v20
	s_delay_alu instid0(VALU_DEP_4) | instskip(NEXT) | instid1(VALU_DEP_1)
	v_fma_f32 v140, 0xbe11bafb, v136, -v139
	v_add_f32_e32 v115, v140, v115
	v_mul_f32_e32 v140, 0xbf7d64f0, v135
	s_delay_alu instid0(VALU_DEP_1) | instskip(NEXT) | instid1(VALU_DEP_1)
	v_fmamk_f32 v143, v137, 0xbe11bafb, v140
	v_add_f32_e32 v129, v143, v129
	v_add_f32_e32 v143, v132, v146
	v_sub_f32_e32 v132, v132, v146
	v_dual_mul_f32 v146, 0xbf4178ce, v144 :: v_dual_mul_f32 v119, 0xbf4178ce, v22
	v_mul_f32_e32 v158, 0x3e903f40, v22
	s_delay_alu instid0(VALU_DEP_3) | instskip(NEXT) | instid1(VALU_DEP_3)
	v_mul_f32_e32 v147, 0xbf4178ce, v132
	v_fma_f32 v130, 0xbf27a4f4, v143, -v146
	s_delay_alu instid0(VALU_DEP_4) | instskip(SKIP_1) | instid1(VALU_DEP_3)
	v_fma_f32 v2, 0xbf27a4f4, v20, -v119
	v_fmac_f32_e32 v119, 0xbf27a4f4, v20
	v_dual_add_f32 v115, v130, v115 :: v_dual_fmamk_f32 v130, v145, 0xbf27a4f4, v147
	s_delay_alu instid0(VALU_DEP_3) | instskip(NEXT) | instid1(VALU_DEP_2)
	v_add_f32_e32 v2, v2, v155
	v_add_f32_e32 v130, v130, v129
	v_fma_f32 v129, 0xbf75a155, v148, -v141
	s_delay_alu instid0(VALU_DEP_1)
	v_add_f32_e32 v129, v129, v115
	v_mul_f32_e32 v115, 0xbe903f40, v133
	v_mul_f32_e32 v155, 0x3f7d64f0, v132
	;; [unrolled: 1-line block ×3, first 2 shown]
	v_fmac_f32_e32 v139, 0xbe11bafb, v136
	v_fmac_f32_e32 v141, 0xbf75a155, v148
	v_fmamk_f32 v156, v131, 0xbf75a155, v115
	s_delay_alu instid0(VALU_DEP_1) | instskip(SKIP_3) | instid1(VALU_DEP_1)
	v_add_f32_e32 v130, v156, v130
	v_mul_f32_e32 v156, 0x3f0a6770, v142
	ds_store_2addr_b64 v24, v[4:5], v[129:130] offset1:7
	v_dual_mul_f32 v129, 0x3e903f40, v138 :: v_dual_mul_f32 v130, 0x3e903f40, v135
	v_fma_f32 v4, 0xbf75a155, v136, -v129
	s_delay_alu instid0(VALU_DEP_1) | instskip(NEXT) | instid1(VALU_DEP_3)
	v_dual_fmac_f32 v129, 0xbf75a155, v136 :: v_dual_add_f32 v2, v4, v2
	v_fmamk_f32 v4, v137, 0xbf75a155, v130
	s_delay_alu instid0(VALU_DEP_1) | instskip(SKIP_2) | instid1(VALU_DEP_2)
	v_add_f32_e32 v3, v4, v3
	v_fma_f32 v4, 0xbe11bafb, v143, -v154
	v_fmac_f32_e32 v146, 0xbf27a4f4, v143
	v_add_f32_e32 v2, v4, v2
	v_fmamk_f32 v4, v145, 0xbe11bafb, v155
	s_delay_alu instid0(VALU_DEP_1) | instskip(SKIP_1) | instid1(VALU_DEP_1)
	v_add_f32_e32 v3, v4, v3
	v_fma_f32 v4, 0x3f575c64, v148, -v156
	v_add_f32_e32 v2, v4, v2
	v_fmamk_f32 v4, v131, 0x3f575c64, v157
	s_delay_alu instid0(VALU_DEP_1) | instskip(SKIP_1) | instid1(VALU_DEP_1)
	v_add_f32_e32 v3, v4, v3
	v_fma_f32 v4, 0xbf75a155, v20, -v158
	v_add_f32_e32 v4, v4, v153
	v_mul_f32_e32 v153, 0x3e903f40, v21
	s_delay_alu instid0(VALU_DEP_1) | instskip(NEXT) | instid1(VALU_DEP_1)
	v_fmamk_f32 v5, v23, 0xbf75a155, v153
	v_dual_add_f32 v5, v5, v152 :: v_dual_mul_f32 v152, 0x3f68dda4, v138
	s_delay_alu instid0(VALU_DEP_1) | instskip(NEXT) | instid1(VALU_DEP_1)
	v_fma_f32 v159, 0x3ed4b147, v136, -v152
	v_dual_add_f32 v4, v159, v4 :: v_dual_mul_f32 v159, 0x3f68dda4, v135
	v_mul_f32_e32 v135, 0xbf4178ce, v135
	s_delay_alu instid0(VALU_DEP_2) | instskip(NEXT) | instid1(VALU_DEP_1)
	v_fmamk_f32 v160, v137, 0x3ed4b147, v159
	v_dual_add_f32 v5, v160, v5 :: v_dual_mul_f32 v160, 0xbf0a6770, v144
	s_delay_alu instid0(VALU_DEP_1) | instskip(NEXT) | instid1(VALU_DEP_1)
	v_fma_f32 v161, 0x3f575c64, v143, -v160
	v_add_f32_e32 v4, v161, v4
	v_mul_f32_e32 v161, 0xbf0a6770, v132
	v_mul_f32_e32 v132, 0x3f68dda4, v132
	s_delay_alu instid0(VALU_DEP_2) | instskip(NEXT) | instid1(VALU_DEP_1)
	v_fmamk_f32 v162, v145, 0x3f575c64, v161
	v_dual_add_f32 v5, v162, v5 :: v_dual_mul_f32 v162, 0xbf4178ce, v142
	v_mul_f32_e32 v142, 0xbf7d64f0, v142
	s_delay_alu instid0(VALU_DEP_2) | instskip(SKIP_1) | instid1(VALU_DEP_2)
	v_fma_f32 v163, 0xbf27a4f4, v148, -v162
	v_fmac_f32_e32 v162, 0xbf27a4f4, v148
	v_dual_add_f32 v4, v163, v4 :: v_dual_mul_f32 v163, 0xbf4178ce, v133
	v_mul_f32_e32 v133, 0xbf7d64f0, v133
	s_delay_alu instid0(VALU_DEP_2) | instskip(NEXT) | instid1(VALU_DEP_1)
	v_fmamk_f32 v164, v131, 0xbf27a4f4, v163
	v_dual_add_f32 v5, v164, v5 :: v_dual_mul_f32 v164, 0x3f7d64f0, v22
	v_fmac_f32_e32 v154, 0xbe11bafb, v143
	v_mul_f32_e32 v22, 0x3f0a6770, v22
	ds_store_2addr_b64 v24, v[2:3], v[4:5] offset0:14 offset1:21
	v_fma_f32 v2, 0xbe11bafb, v20, -v164
	s_delay_alu instid0(VALU_DEP_1) | instskip(SKIP_1) | instid1(VALU_DEP_2)
	v_dual_add_f32 v2, v2, v151 :: v_dual_mul_f32 v151, 0x3f7d64f0, v21
	v_mul_f32_e32 v21, 0x3f0a6770, v21
	v_fmamk_f32 v3, v23, 0xbe11bafb, v151
	s_delay_alu instid0(VALU_DEP_2) | instskip(NEXT) | instid1(VALU_DEP_2)
	v_fmamk_f32 v5, v23, 0x3f575c64, v21
	v_add_f32_e32 v3, v3, v150
	s_delay_alu instid0(VALU_DEP_2) | instskip(SKIP_1) | instid1(VALU_DEP_2)
	v_dual_mul_f32 v150, 0xbf0a6770, v138 :: v_dual_add_f32 v5, v5, v99
	v_mul_f32_e32 v99, 0xbf4178ce, v138
	v_fma_f32 v4, 0x3f575c64, v136, -v150
	s_delay_alu instid0(VALU_DEP_2) | instskip(NEXT) | instid1(VALU_DEP_2)
	v_fma_f32 v138, 0xbf27a4f4, v136, -v99
	v_dual_fmac_f32 v99, 0xbf27a4f4, v136 :: v_dual_add_f32 v2, v4, v2
	v_fmamk_f32 v4, v137, 0x3f575c64, v165
	s_delay_alu instid0(VALU_DEP_1) | instskip(SKIP_2) | instid1(VALU_DEP_2)
	v_add_f32_e32 v3, v4, v3
	v_fma_f32 v4, 0xbf75a155, v143, -v166
	v_fmac_f32_e32 v156, 0x3f575c64, v148
	v_add_f32_e32 v2, v4, v2
	v_fmamk_f32 v4, v145, 0xbf75a155, v167
	s_delay_alu instid0(VALU_DEP_1) | instskip(SKIP_3) | instid1(VALU_DEP_3)
	v_add_f32_e32 v3, v4, v3
	v_fma_f32 v4, 0x3ed4b147, v148, -v169
	v_fmac_f32_e32 v169, 0x3ed4b147, v148
	v_fmac_f32_e32 v158, 0xbf75a155, v20
	v_add_f32_e32 v2, v4, v2
	v_fmamk_f32 v4, v131, 0x3ed4b147, v170
	s_delay_alu instid0(VALU_DEP_1) | instskip(SKIP_2) | instid1(VALU_DEP_2)
	v_add_f32_e32 v3, v4, v3
	v_fma_f32 v4, 0x3f575c64, v20, -v22
	v_fmac_f32_e32 v152, 0x3ed4b147, v136
	v_add_f32_e32 v4, v4, v149
	s_delay_alu instid0(VALU_DEP_1) | instskip(SKIP_1) | instid1(VALU_DEP_1)
	v_add_f32_e32 v4, v138, v4
	v_fmamk_f32 v138, v137, 0xbf27a4f4, v135
	v_dual_add_f32 v5, v138, v5 :: v_dual_mul_f32 v138, 0x3f68dda4, v144
	s_delay_alu instid0(VALU_DEP_1) | instskip(SKIP_1) | instid1(VALU_DEP_2)
	v_fma_f32 v144, 0x3ed4b147, v143, -v138
	v_fmac_f32_e32 v138, 0x3ed4b147, v143
	v_add_f32_e32 v4, v144, v4
	v_fmamk_f32 v144, v145, 0x3ed4b147, v132
	s_delay_alu instid0(VALU_DEP_1) | instskip(SKIP_2) | instid1(VALU_DEP_2)
	v_add_f32_e32 v5, v144, v5
	v_fma_f32 v144, 0xbe11bafb, v148, -v142
	v_fmac_f32_e32 v142, 0xbe11bafb, v148
	v_add_f32_e32 v4, v144, v4
	v_fmamk_f32 v144, v131, 0xbe11bafb, v133
	s_delay_alu instid0(VALU_DEP_1)
	v_add_f32_e32 v5, v144, v5
	ds_store_2addr_b64 v24, v[2:3], v[4:5] offset0:28 offset1:35
	v_fma_f32 v3, 0xbe11bafb, v23, -v151
	v_fma_f32 v5, 0x3f575c64, v23, -v21
	;; [unrolled: 1-line block ×4, first 2 shown]
	s_delay_alu instid0(VALU_DEP_4) | instskip(NEXT) | instid1(VALU_DEP_4)
	v_add_f32_e32 v3, v3, v97
	v_dual_add_f32 v5, v5, v86 :: v_dual_fmac_f32 v164, 0xbe11bafb, v20
	v_dual_add_f32 v86, v108, v126 :: v_dual_sub_f32 v97, v105, v124
	s_delay_alu instid0(VALU_DEP_3) | instskip(SKIP_1) | instid1(VALU_DEP_4)
	v_add_f32_e32 v3, v4, v3
	v_fma_f32 v4, 0xbf75a155, v145, -v167
	v_add_f32_e32 v5, v21, v5
	v_fma_f32 v21, 0x3ed4b147, v145, -v132
	v_add_f32_e32 v2, v164, v98
	s_delay_alu instid0(VALU_DEP_4) | instskip(SKIP_1) | instid1(VALU_DEP_4)
	v_add_f32_e32 v3, v4, v3
	v_fma_f32 v4, 0x3ed4b147, v131, -v170
	v_dual_add_f32 v5, v21, v5 :: v_dual_fmac_f32 v22, 0x3f575c64, v20
	v_fmac_f32_e32 v150, 0x3f575c64, v136
	v_fma_f32 v21, 0xbe11bafb, v131, -v133
	s_delay_alu instid0(VALU_DEP_4) | instskip(SKIP_2) | instid1(VALU_DEP_4)
	v_add_f32_e32 v3, v4, v3
	v_fmac_f32_e32 v166, 0xbf75a155, v143
	v_add_f32_e32 v4, v22, v95
	v_dual_add_f32 v2, v150, v2 :: v_dual_add_f32 v5, v21, v5
	v_fma_f32 v21, 0x3ed4b147, v137, -v159
	v_sub_f32_e32 v22, v109, v127
	s_delay_alu instid0(VALU_DEP_4) | instskip(NEXT) | instid1(VALU_DEP_4)
	v_add_f32_e32 v4, v99, v4
	v_dual_add_f32 v2, v166, v2 :: v_dual_add_f32 v99, v104, v123
	v_add_f32_e32 v20, v110, v128
	v_sub_f32_e32 v98, v104, v123
	s_delay_alu instid0(VALU_DEP_4) | instskip(NEXT) | instid1(VALU_DEP_4)
	v_add_f32_e32 v4, v138, v4
	v_add_f32_e32 v2, v169, v2
	s_delay_alu instid0(VALU_DEP_2)
	v_add_f32_e32 v4, v142, v4
	ds_store_2addr_b64 v24, v[4:5], v[2:3] offset0:42 offset1:49
	v_fma_f32 v5, 0xbf75a155, v23, -v153
	v_fma_f32 v3, 0xbf27a4f4, v23, -v120
	v_add_f32_e32 v2, v119, v94
	v_fma_f32 v4, 0xbf75a155, v137, -v130
	s_delay_alu instid0(VALU_DEP_4) | instskip(NEXT) | instid1(VALU_DEP_3)
	v_add_f32_e32 v5, v5, v91
	v_dual_add_f32 v3, v3, v93 :: v_dual_add_f32 v2, v129, v2
	v_sub_f32_e32 v91, v106, v125
	s_delay_alu instid0(VALU_DEP_3) | instskip(SKIP_1) | instid1(VALU_DEP_4)
	v_add_f32_e32 v5, v21, v5
	v_fma_f32 v21, 0x3f575c64, v145, -v161
	v_add_f32_e32 v3, v4, v3
	v_fma_f32 v4, 0xbe11bafb, v145, -v155
	v_mul_f32_e32 v93, 0xbf7d64f0, v91
	s_delay_alu instid0(VALU_DEP_4) | instskip(SKIP_1) | instid1(VALU_DEP_4)
	v_add_f32_e32 v5, v21, v5
	v_fma_f32 v21, 0xbf27a4f4, v131, -v163
	v_add_f32_e32 v3, v4, v3
	v_fma_f32 v4, 0x3f575c64, v131, -v157
	v_fma_f32 v94, 0xbe11bafb, v86, -v93
	s_delay_alu instid0(VALU_DEP_4) | instskip(SKIP_1) | instid1(VALU_DEP_4)
	v_dual_fmac_f32 v160, 0x3f575c64, v143 :: v_dual_add_f32 v5, v21, v5
	v_sub_f32_e32 v21, v110, v128
	v_dual_add_f32 v2, v154, v2 :: v_dual_add_f32 v3, v4, v3
	v_add_f32_e32 v4, v158, v92
	v_add_f32_e32 v92, v106, v125
	s_delay_alu instid0(VALU_DEP_4) | instskip(NEXT) | instid1(VALU_DEP_4)
	v_mul_f32_e32 v130, 0x3f7d64f0, v21
	v_add_f32_e32 v2, v156, v2
	s_delay_alu instid0(VALU_DEP_4) | instskip(NEXT) | instid1(VALU_DEP_1)
	v_add_f32_e32 v4, v152, v4
	v_add_f32_e32 v4, v160, v4
	s_delay_alu instid0(VALU_DEP_1)
	v_add_f32_e32 v4, v162, v4
	ds_store_2addr_b64 v24, v[4:5], v[2:3] offset0:56 offset1:63
	v_fma_f32 v2, 0x3ed4b147, v23, -v134
	v_add_f32_e32 v3, v81, v84
	v_fma_f32 v4, 0xbe11bafb, v137, -v140
	v_fma_f32 v5, 0xbf75a155, v131, -v115
	s_delay_alu instid0(VALU_DEP_4) | instskip(NEXT) | instid1(VALU_DEP_4)
	v_dual_add_f32 v23, v109, v127 :: v_dual_add_f32 v2, v2, v85
	v_add_f32_e32 v3, v139, v3
	v_sub_f32_e32 v85, v108, v126
	v_mul_f32_e32 v115, 0x3f7d64f0, v97
	v_mul_f32_e32 v84, 0xbf68dda4, v21
	v_add_f32_e32 v2, v4, v2
	v_fma_f32 v4, 0xbf27a4f4, v145, -v147
	v_add_f32_e32 v3, v146, v3
	v_dual_mul_f32 v131, 0xbf0a6770, v91 :: v_dual_mul_f32 v132, 0xbf0a6770, v85
	v_mul_f32_e32 v134, 0xbe903f40, v97
	s_delay_alu instid0(VALU_DEP_4) | instskip(NEXT) | instid1(VALU_DEP_4)
	v_add_f32_e32 v4, v4, v2
	v_add_f32_e32 v2, v141, v3
	s_delay_alu instid0(VALU_DEP_2) | instskip(SKIP_1) | instid1(VALU_DEP_1)
	v_dual_add_f32 v3, v5, v4 :: v_dual_add_f32 v4, v215, v110
	v_add_f32_e32 v5, v216, v109
	v_dual_add_f32 v4, v4, v108 :: v_dual_add_f32 v5, v5, v106
	v_sub_f32_e32 v108, v102, v103
	s_delay_alu instid0(VALU_DEP_2) | instskip(SKIP_1) | instid1(VALU_DEP_2)
	v_dual_add_f32 v4, v4, v105 :: v_dual_add_f32 v5, v5, v104
	v_mul_f32_e32 v104, 0xbf4178ce, v98
	v_dual_mul_f32 v119, 0x3f0a6770, v108 :: v_dual_add_f32 v4, v4, v107
	s_delay_alu instid0(VALU_DEP_3) | instskip(NEXT) | instid1(VALU_DEP_2)
	v_dual_add_f32 v5, v5, v102 :: v_dual_add_f32 v102, v102, v103
	v_add_f32_e32 v4, v4, v111
	s_delay_alu instid0(VALU_DEP_2)
	v_add_f32_e32 v5, v5, v103
	v_mul_f32_e32 v103, 0xbe903f40, v108
	ds_store_b64 v24, v[2:3] offset:560
	v_and_b32_e32 v2, 0xffff, v121
	v_dual_add_f32 v4, v4, v124 :: v_dual_add_f32 v5, v5, v123
	v_mul_f32_e32 v121, 0x3e903f40, v22
	v_mul_f32_e32 v123, 0x3f68dda4, v91
	s_delay_alu instid0(VALU_DEP_4) | instskip(NEXT) | instid1(VALU_DEP_4)
	v_mul_u32_u24_e32 v2, 0x4d, v2
	v_dual_add_f32 v4, v4, v126 :: v_dual_add_f32 v5, v5, v125
	s_delay_alu instid0(VALU_DEP_2) | instskip(NEXT) | instid1(VALU_DEP_2)
	v_add_lshl_u32 v24, v2, v122, 3
	v_dual_add_f32 v4, v4, v128 :: v_dual_add_f32 v5, v5, v127
	v_mul_f32_e32 v122, 0x3e903f40, v21
	s_delay_alu instid0(VALU_DEP_2) | instskip(NEXT) | instid1(VALU_DEP_3)
	v_dual_add_f32 v4, v4, v83 :: v_dual_mul_f32 v83, 0xbf68dda4, v22
	v_dual_add_f32 v5, v5, v82 :: v_dual_fmamk_f32 v82, v23, 0x3ed4b147, v84
	s_delay_alu instid0(VALU_DEP_2) | instskip(NEXT) | instid1(VALU_DEP_2)
	v_fma_f32 v81, 0x3ed4b147, v20, -v83
	v_add_f32_e32 v82, v82, v114
	v_mul_f32_e32 v114, 0x3f7d64f0, v98
	s_delay_alu instid0(VALU_DEP_3) | instskip(NEXT) | instid1(VALU_DEP_1)
	v_add_f32_e32 v81, v81, v214
	v_add_f32_e32 v81, v94, v81
	v_mul_f32_e32 v94, 0xbf7d64f0, v85
	s_delay_alu instid0(VALU_DEP_1) | instskip(NEXT) | instid1(VALU_DEP_1)
	v_fmamk_f32 v95, v92, 0xbe11bafb, v94
	v_dual_add_f32 v82, v95, v82 :: v_dual_add_f32 v95, v105, v124
	v_fma_f32 v124, 0x3ed4b147, v86, -v123
	s_delay_alu instid0(VALU_DEP_2) | instskip(NEXT) | instid1(VALU_DEP_1)
	v_fma_f32 v105, 0xbf27a4f4, v95, -v104
	v_add_f32_e32 v81, v105, v81
	v_mul_f32_e32 v105, 0xbf4178ce, v97
	s_delay_alu instid0(VALU_DEP_1) | instskip(NEXT) | instid1(VALU_DEP_1)
	v_fmamk_f32 v106, v99, 0xbf27a4f4, v105
	v_add_f32_e32 v82, v106, v82
	v_add_f32_e32 v106, v107, v111
	v_sub_f32_e32 v107, v107, v111
	v_mul_f32_e32 v111, 0x3e903f40, v85
	s_delay_alu instid0(VALU_DEP_3) | instskip(NEXT) | instid1(VALU_DEP_3)
	v_fma_f32 v109, 0xbf75a155, v106, -v103
	v_mul_f32_e32 v120, 0x3f0a6770, v107
	s_delay_alu instid0(VALU_DEP_2) | instskip(SKIP_1) | instid1(VALU_DEP_1)
	v_dual_mul_f32 v136, 0x3f68dda4, v107 :: v_dual_add_f32 v81, v109, v81
	v_mul_f32_e32 v109, 0xbe903f40, v107
	v_fmamk_f32 v110, v102, 0xbf75a155, v109
	s_delay_alu instid0(VALU_DEP_1)
	v_add_f32_e32 v82, v110, v82
	v_mul_f32_e32 v110, 0x3e903f40, v91
	v_mul_f32_e32 v91, 0xbf4178ce, v91
	ds_store_2addr_b64 v24, v[4:5], v[81:82] offset1:7
	v_fmamk_f32 v5, v23, 0xbf75a155, v122
	v_dual_mul_f32 v81, 0xbf4178ce, v22 :: v_dual_mul_f32 v82, 0xbf4178ce, v21
	v_fma_f32 v4, 0xbf75a155, v86, -v110
	v_mul_f32_e32 v21, 0x3f0a6770, v21
	s_delay_alu instid0(VALU_DEP_4) | instskip(NEXT) | instid1(VALU_DEP_4)
	v_add_f32_e32 v5, v5, v206
	v_fma_f32 v2, 0xbf27a4f4, v20, -v81
	s_delay_alu instid0(VALU_DEP_1) | instskip(NEXT) | instid1(VALU_DEP_1)
	v_dual_fmamk_f32 v3, v23, 0xbf27a4f4, v82 :: v_dual_add_f32 v2, v2, v213
	v_dual_add_f32 v3, v3, v209 :: v_dual_add_f32 v2, v4, v2
	v_fmamk_f32 v4, v92, 0xbf75a155, v111
	s_delay_alu instid0(VALU_DEP_1) | instskip(SKIP_2) | instid1(VALU_DEP_2)
	v_add_f32_e32 v3, v4, v3
	v_fma_f32 v4, 0xbe11bafb, v95, -v114
	v_fmac_f32_e32 v81, 0xbf27a4f4, v20
	v_dual_fmac_f32 v83, 0x3ed4b147, v20 :: v_dual_add_f32 v2, v4, v2
	v_fmamk_f32 v4, v99, 0xbe11bafb, v115
	s_delay_alu instid0(VALU_DEP_1) | instskip(SKIP_1) | instid1(VALU_DEP_1)
	v_add_f32_e32 v3, v4, v3
	v_fma_f32 v4, 0x3f575c64, v106, -v119
	v_add_f32_e32 v2, v4, v2
	v_fmamk_f32 v4, v102, 0x3f575c64, v120
	s_delay_alu instid0(VALU_DEP_1) | instskip(SKIP_1) | instid1(VALU_DEP_1)
	v_add_f32_e32 v3, v4, v3
	v_fma_f32 v4, 0xbf75a155, v20, -v121
	v_dual_fmac_f32 v121, 0xbf75a155, v20 :: v_dual_add_f32 v4, v4, v207
	s_delay_alu instid0(VALU_DEP_1) | instskip(SKIP_2) | instid1(VALU_DEP_2)
	v_add_f32_e32 v4, v124, v4
	v_mul_f32_e32 v124, 0x3f68dda4, v85
	v_mul_f32_e32 v85, 0xbf4178ce, v85
	v_fmamk_f32 v125, v92, 0x3ed4b147, v124
	s_delay_alu instid0(VALU_DEP_1)
	v_add_f32_e32 v5, v125, v5
	v_mul_f32_e32 v125, 0xbf0a6770, v98
	v_fma_f32 v137, 0xbf27a4f4, v86, -v91
	v_fmac_f32_e32 v91, 0xbf27a4f4, v86
	v_fmac_f32_e32 v119, 0x3f575c64, v106
	;; [unrolled: 1-line block ×3, first 2 shown]
	v_fma_f32 v126, 0x3f575c64, v95, -v125
	v_fmac_f32_e32 v125, 0x3f575c64, v95
	v_fmac_f32_e32 v93, 0xbe11bafb, v86
	s_delay_alu instid0(VALU_DEP_3) | instskip(SKIP_2) | instid1(VALU_DEP_2)
	v_dual_fmac_f32 v103, 0xbf75a155, v106 :: v_dual_add_f32 v4, v126, v4
	v_mul_f32_e32 v126, 0xbf0a6770, v97
	v_mul_f32_e32 v97, 0x3f68dda4, v97
	v_fmamk_f32 v127, v99, 0x3f575c64, v126
	v_mul_f32_e32 v133, 0xbe903f40, v98
	s_delay_alu instid0(VALU_DEP_2) | instskip(SKIP_2) | instid1(VALU_DEP_2)
	v_dual_mul_f32 v98, 0x3f68dda4, v98 :: v_dual_add_f32 v5, v127, v5
	v_mul_f32_e32 v127, 0xbf4178ce, v108
	v_fmac_f32_e32 v104, 0xbf27a4f4, v95
	v_fma_f32 v128, 0xbf27a4f4, v106, -v127
	s_delay_alu instid0(VALU_DEP_1) | instskip(SKIP_2) | instid1(VALU_DEP_2)
	v_dual_fmac_f32 v127, 0xbf27a4f4, v106 :: v_dual_add_f32 v4, v128, v4
	v_mul_f32_e32 v128, 0xbf4178ce, v107
	v_mul_f32_e32 v107, 0xbf7d64f0, v107
	v_fmamk_f32 v129, v102, 0xbf27a4f4, v128
	s_delay_alu instid0(VALU_DEP_1)
	v_add_f32_e32 v5, v129, v5
	v_mul_f32_e32 v129, 0x3f7d64f0, v22
	v_mul_f32_e32 v135, 0x3f68dda4, v108
	;; [unrolled: 1-line block ×4, first 2 shown]
	ds_store_2addr_b64 v24, v[2:3], v[4:5] offset0:14 offset1:21
	v_fma_f32 v2, 0xbe11bafb, v20, -v129
	v_fmamk_f32 v3, v23, 0xbe11bafb, v130
	v_fma_f32 v4, 0x3f575c64, v86, -v131
	v_fmamk_f32 v5, v23, 0x3f575c64, v21
	s_delay_alu instid0(VALU_DEP_4) | instskip(NEXT) | instid1(VALU_DEP_4)
	v_dual_fmac_f32 v129, 0xbe11bafb, v20 :: v_dual_add_f32 v2, v2, v203
	v_add_f32_e32 v3, v3, v202
	v_fmac_f32_e32 v131, 0x3f575c64, v86
	s_delay_alu instid0(VALU_DEP_4) | instskip(SKIP_3) | instid1(VALU_DEP_1)
	v_add_f32_e32 v5, v5, v198
	v_fmac_f32_e32 v110, 0xbf75a155, v86
	v_add_f32_e32 v2, v4, v2
	v_fmamk_f32 v4, v92, 0x3f575c64, v132
	v_add_f32_e32 v3, v4, v3
	v_fma_f32 v4, 0xbf75a155, v95, -v133
	s_delay_alu instid0(VALU_DEP_1) | instskip(SKIP_1) | instid1(VALU_DEP_1)
	v_dual_fmac_f32 v133, 0xbf75a155, v95 :: v_dual_add_f32 v2, v4, v2
	v_fmamk_f32 v4, v99, 0xbf75a155, v134
	v_add_f32_e32 v3, v4, v3
	v_fma_f32 v4, 0x3ed4b147, v106, -v135
	v_fmac_f32_e32 v135, 0x3ed4b147, v106
	s_delay_alu instid0(VALU_DEP_2) | instskip(SKIP_1) | instid1(VALU_DEP_1)
	v_add_f32_e32 v2, v4, v2
	v_fmamk_f32 v4, v102, 0x3ed4b147, v136
	v_add_f32_e32 v3, v4, v3
	v_fma_f32 v4, 0x3f575c64, v20, -v22
	s_delay_alu instid0(VALU_DEP_1) | instskip(NEXT) | instid1(VALU_DEP_1)
	v_add_f32_e32 v4, v4, v199
	v_dual_add_f32 v4, v137, v4 :: v_dual_fmamk_f32 v137, v92, 0xbf27a4f4, v85
	s_delay_alu instid0(VALU_DEP_1) | instskip(SKIP_2) | instid1(VALU_DEP_2)
	v_add_f32_e32 v5, v137, v5
	v_fma_f32 v137, 0x3ed4b147, v95, -v98
	v_fmac_f32_e32 v98, 0x3ed4b147, v95
	v_dual_add_f32 v4, v137, v4 :: v_dual_fmamk_f32 v137, v99, 0x3ed4b147, v97
	s_delay_alu instid0(VALU_DEP_1) | instskip(SKIP_4) | instid1(VALU_DEP_4)
	v_add_f32_e32 v5, v137, v5
	v_fma_f32 v137, 0xbe11bafb, v106, -v108
	v_fmac_f32_e32 v108, 0xbe11bafb, v106
	v_fmac_f32_e32 v114, 0xbe11bafb, v95
	v_sub_f32_e32 v106, v6, v18
	v_dual_add_f32 v95, v11, v10 :: v_dual_add_f32 v4, v137, v4
	v_fmamk_f32 v137, v102, 0xbe11bafb, v107
	s_delay_alu instid0(VALU_DEP_1)
	v_add_f32_e32 v5, v137, v5
	ds_store_2addr_b64 v24, v[2:3], v[4:5] offset0:28 offset1:35
	v_fma_f32 v5, 0x3f575c64, v23, -v21
	v_fma_f32 v3, 0xbe11bafb, v23, -v130
	;; [unrolled: 1-line block ×4, first 2 shown]
	v_add_f32_e32 v2, v129, v191
	v_add_f32_e32 v5, v5, v80
	;; [unrolled: 1-line block ×3, first 2 shown]
	s_delay_alu instid0(VALU_DEP_2) | instskip(SKIP_1) | instid1(VALU_DEP_3)
	v_dual_add_f32 v2, v131, v2 :: v_dual_add_f32 v5, v21, v5
	v_fma_f32 v21, 0x3ed4b147, v99, -v97
	v_add_f32_e32 v3, v4, v3
	v_fma_f32 v4, 0xbf75a155, v99, -v134
	s_delay_alu instid0(VALU_DEP_4) | instskip(NEXT) | instid1(VALU_DEP_4)
	v_dual_add_f32 v2, v133, v2 :: v_dual_add_f32 v97, v15, v13
	v_add_f32_e32 v5, v21, v5
	v_fma_f32 v21, 0xbe11bafb, v102, -v107
	s_delay_alu instid0(VALU_DEP_4) | instskip(SKIP_2) | instid1(VALU_DEP_4)
	v_add_f32_e32 v3, v4, v3
	v_fma_f32 v4, 0x3ed4b147, v102, -v136
	v_sub_f32_e32 v107, v17, v90
	v_dual_add_f32 v5, v21, v5 :: v_dual_fmac_f32 v22, 0x3f575c64, v20
	s_delay_alu instid0(VALU_DEP_3)
	v_add_f32_e32 v3, v4, v3
	v_fma_f32 v21, 0x3ed4b147, v92, -v124
	v_add_f32_e32 v2, v135, v2
	v_fma_f32 v20, 0xbe11bafb, v92, -v94
	v_add_f32_e32 v4, v22, v187
	v_sub_f32_e32 v22, v9, v89
	s_delay_alu instid0(VALU_DEP_2) | instskip(NEXT) | instid1(VALU_DEP_1)
	v_dual_add_f32 v4, v91, v4 :: v_dual_add_f32 v91, v14, v19
	v_add_f32_e32 v4, v98, v4
	s_delay_alu instid0(VALU_DEP_1)
	v_add_f32_e32 v4, v108, v4
	v_sub_f32_e32 v108, v14, v19
	ds_store_2addr_b64 v24, v[4:5], v[2:3] offset0:42 offset1:49
	v_fma_f32 v3, 0xbf27a4f4, v23, -v82
	v_fma_f32 v4, 0xbf75a155, v92, -v111
	;; [unrolled: 1-line block ×3, first 2 shown]
	v_dual_add_f32 v2, v81, v182 :: v_dual_mul_f32 v85, 0xbf7d64f0, v108
	s_delay_alu instid0(VALU_DEP_4) | instskip(NEXT) | instid1(VALU_DEP_2)
	v_dual_add_f32 v3, v3, v180 :: v_dual_mul_f32 v82, 0xbf68dda4, v106
	v_dual_add_f32 v5, v5, v175 :: v_dual_add_f32 v2, v110, v2
	s_delay_alu instid0(VALU_DEP_2) | instskip(SKIP_1) | instid1(VALU_DEP_3)
	v_dual_add_f32 v92, v17, v90 :: v_dual_add_f32 v3, v4, v3
	v_fma_f32 v4, 0xbe11bafb, v99, -v115
	v_add_f32_e32 v5, v21, v5
	v_fma_f32 v21, 0x3f575c64, v99, -v126
	v_add_f32_e32 v2, v114, v2
	v_sub_f32_e32 v110, v12, v88
	v_add_f32_e32 v3, v4, v3
	v_fma_f32 v4, 0x3f575c64, v102, -v120
	v_add_f32_e32 v5, v21, v5
	v_fma_f32 v21, 0xbf27a4f4, v102, -v128
	s_delay_alu instid0(VALU_DEP_3) | instskip(SKIP_1) | instid1(VALU_DEP_1)
	v_dual_add_f32 v2, v119, v2 :: v_dual_add_f32 v3, v4, v3
	v_add_f32_e32 v4, v121, v176
	v_dual_add_f32 v5, v21, v5 :: v_dual_add_f32 v4, v123, v4
	s_delay_alu instid0(VALU_DEP_1) | instskip(NEXT) | instid1(VALU_DEP_1)
	v_add_f32_e32 v4, v125, v4
	v_add_f32_e32 v4, v127, v4
	ds_store_2addr_b64 v24, v[4:5], v[2:3] offset0:56 offset1:63
	v_fma_f32 v4, 0x3ed4b147, v23, -v84
	v_mul_f32_e32 v3, v116, v29
	s_delay_alu instid0(VALU_DEP_2) | instskip(NEXT) | instid1(VALU_DEP_2)
	v_dual_add_f32 v5, v83, v87 :: v_dual_add_f32 v4, v4, v168
	v_fmac_f32_e32 v3, v117, v28
	s_delay_alu instid0(VALU_DEP_2) | instskip(SKIP_1) | instid1(VALU_DEP_4)
	v_add_f32_e32 v5, v93, v5
	v_add_f32_e32 v93, v12, v88
	;; [unrolled: 1-line block ×3, first 2 shown]
	v_fma_f32 v20, 0xbf27a4f4, v99, -v105
	v_dual_add_f32 v99, v6, v18 :: v_dual_mul_f32 v2, v117, v29
	v_add_f32_e32 v5, v104, v5
	s_delay_alu instid0(VALU_DEP_3) | instskip(SKIP_1) | instid1(VALU_DEP_4)
	v_add_f32_e32 v4, v20, v4
	v_fma_f32 v20, 0xbf75a155, v102, -v109
	v_fma_f32 v2, v116, v28, -v2
	s_delay_alu instid0(VALU_DEP_4) | instskip(SKIP_1) | instid1(VALU_DEP_4)
	v_dual_add_f32 v104, v103, v5 :: v_dual_sub_f32 v109, v16, v96
	v_add_f32_e32 v102, v100, v3
	v_add_f32_e32 v105, v20, v4
	v_sub_f32_e32 v20, v100, v3
	v_dual_add_f32 v98, v7, v2 :: v_dual_add_f32 v103, v9, v89
	v_mul_f32_e32 v116, 0xbf4178ce, v22
	s_delay_alu instid0(VALU_DEP_3) | instskip(NEXT) | instid1(VALU_DEP_3)
	v_mul_f32_e32 v5, 0xbf0a6770, v20
	v_fma_f32 v81, 0x3ed4b147, v103, -v82
	s_delay_alu instid0(VALU_DEP_3) | instskip(SKIP_1) | instid1(VALU_DEP_4)
	v_fma_f32 v117, 0xbf27a4f4, v99, -v116
	v_add_f32_e32 v94, v16, v96
	v_fmamk_f32 v4, v98, 0x3f575c64, v5
	s_delay_alu instid0(VALU_DEP_1) | instskip(NEXT) | instid1(VALU_DEP_1)
	v_dual_add_f32 v21, v0, v4 :: v_dual_mul_f32 v4, 0xbf68dda4, v22
	v_fmamk_f32 v23, v99, 0x3ed4b147, v4
	s_delay_alu instid0(VALU_DEP_1) | instskip(SKIP_1) | instid1(VALU_DEP_1)
	v_add_f32_e32 v21, v23, v21
	v_sub_f32_e32 v23, v7, v2
	v_dual_sub_f32 v114, v15, v13 :: v_dual_mul_f32 v83, 0xbf0a6770, v23
	s_delay_alu instid0(VALU_DEP_1) | instskip(NEXT) | instid1(VALU_DEP_1)
	v_fma_f32 v80, 0x3f575c64, v102, -v83
	v_add_f32_e32 v80, v1, v80
	s_delay_alu instid0(VALU_DEP_1) | instskip(NEXT) | instid1(VALU_DEP_1)
	v_dual_add_f32 v81, v81, v80 :: v_dual_mul_f32 v80, 0xbf7d64f0, v107
	v_fmamk_f32 v84, v91, 0xbe11bafb, v80
	s_delay_alu instid0(VALU_DEP_1) | instskip(SKIP_1) | instid1(VALU_DEP_1)
	v_add_f32_e32 v21, v84, v21
	v_fma_f32 v84, 0xbe11bafb, v92, -v85
	v_add_f32_e32 v84, v84, v81
	v_mul_f32_e32 v81, 0xbf4178ce, v109
	s_delay_alu instid0(VALU_DEP_1) | instskip(NEXT) | instid1(VALU_DEP_1)
	v_fmamk_f32 v86, v93, 0xbf27a4f4, v81
	v_dual_add_f32 v21, v86, v21 :: v_dual_mul_f32 v86, 0xbf4178ce, v110
	s_delay_alu instid0(VALU_DEP_1) | instskip(NEXT) | instid1(VALU_DEP_1)
	v_fma_f32 v87, 0xbf27a4f4, v94, -v86
	v_dual_add_f32 v111, v87, v84 :: v_dual_mul_f32 v120, 0xbf4178ce, v106
	s_delay_alu instid0(VALU_DEP_1) | instskip(SKIP_1) | instid1(VALU_DEP_1)
	v_fmamk_f32 v121, v103, 0xbf27a4f4, v120
	v_mul_f32_e32 v84, 0xbe903f40, v114
	v_fmamk_f32 v87, v95, 0xbf75a155, v84
	s_delay_alu instid0(VALU_DEP_1) | instskip(SKIP_1) | instid1(VALU_DEP_1)
	v_add_f32_e32 v25, v87, v21
	v_sub_f32_e32 v21, v11, v10
	v_mul_f32_e32 v87, 0xbe903f40, v21
	v_mul_f32_e32 v126, 0x3f0a6770, v21
	s_delay_alu instid0(VALU_DEP_2) | instskip(NEXT) | instid1(VALU_DEP_1)
	v_fma_f32 v115, 0xbf75a155, v97, -v87
	v_dual_add_f32 v26, v115, v111 :: v_dual_mul_f32 v111, 0xbf68dda4, v20
	s_delay_alu instid0(VALU_DEP_1) | instskip(SKIP_1) | instid1(VALU_DEP_2)
	v_fma_f32 v115, 0x3ed4b147, v98, -v111
	v_fmac_f32_e32 v111, 0x3ed4b147, v98
	v_add_f32_e32 v115, v0, v115
	s_delay_alu instid0(VALU_DEP_1) | instskip(SKIP_1) | instid1(VALU_DEP_4)
	v_add_f32_e32 v115, v117, v115
	v_mul_f32_e32 v117, 0xbf68dda4, v23
	v_add_f32_e32 v111, v0, v111
	s_delay_alu instid0(VALU_DEP_2) | instskip(SKIP_2) | instid1(VALU_DEP_1)
	v_fmamk_f32 v119, v102, 0x3ed4b147, v117
	scratch_store_b64 off, v[25:26], off offset:20 ; 8-byte Folded Spill
	v_add_f32_e32 v119, v1, v119
	v_add_f32_e32 v119, v121, v119
	v_mul_f32_e32 v121, 0x3e903f40, v107
	s_delay_alu instid0(VALU_DEP_1) | instskip(NEXT) | instid1(VALU_DEP_1)
	v_fma_f32 v122, 0xbf75a155, v91, -v121
	v_dual_add_f32 v115, v122, v115 :: v_dual_mul_f32 v122, 0x3e903f40, v108
	v_fmac_f32_e32 v116, 0xbf27a4f4, v99
	v_fmac_f32_e32 v121, 0xbf75a155, v91
	s_delay_alu instid0(VALU_DEP_3) | instskip(NEXT) | instid1(VALU_DEP_3)
	v_fmamk_f32 v123, v92, 0xbf75a155, v122
	v_add_f32_e32 v111, v116, v111
	s_delay_alu instid0(VALU_DEP_2) | instskip(SKIP_2) | instid1(VALU_DEP_2)
	v_add_f32_e32 v119, v123, v119
	v_mul_f32_e32 v123, 0x3f7d64f0, v109
	v_fma_f32 v116, 0xbf27a4f4, v103, -v120
	v_fma_f32 v124, 0xbe11bafb, v93, -v123
	s_delay_alu instid0(VALU_DEP_1) | instskip(SKIP_2) | instid1(VALU_DEP_3)
	v_dual_add_f32 v115, v124, v115 :: v_dual_mul_f32 v124, 0x3f7d64f0, v110
	v_fmamk_f32 v128, v97, 0x3f575c64, v126
	v_fmac_f32_e32 v123, 0xbe11bafb, v93
	v_fmamk_f32 v125, v94, 0xbe11bafb, v124
	s_delay_alu instid0(VALU_DEP_1) | instskip(SKIP_1) | instid1(VALU_DEP_1)
	v_add_f32_e32 v119, v125, v119
	v_mul_f32_e32 v125, 0x3f0a6770, v114
	v_fma_f32 v127, 0x3f575c64, v95, -v125
	s_delay_alu instid0(VALU_DEP_1) | instskip(SKIP_1) | instid1(VALU_DEP_1)
	v_add_f32_e32 v25, v127, v115
	v_fma_f32 v115, 0x3ed4b147, v102, -v117
	v_add_f32_e32 v115, v1, v115
	s_delay_alu instid0(VALU_DEP_1) | instskip(SKIP_2) | instid1(VALU_DEP_2)
	v_add_f32_e32 v115, v116, v115
	v_fma_f32 v116, 0xbf75a155, v92, -v122
	v_dual_mul_f32 v122, 0x3e903f40, v106 :: v_dual_add_f32 v111, v121, v111
	v_add_f32_e32 v115, v116, v115
	v_fma_f32 v116, 0xbe11bafb, v94, -v124
	s_delay_alu instid0(VALU_DEP_3) | instskip(NEXT) | instid1(VALU_DEP_4)
	v_add_f32_e32 v111, v123, v111
	v_fmamk_f32 v123, v103, 0xbf75a155, v122
	s_delay_alu instid0(VALU_DEP_3) | instskip(SKIP_1) | instid1(VALU_DEP_1)
	v_add_f32_e32 v115, v116, v115
	v_fma_f32 v116, 0x3f575c64, v97, -v126
	v_add_f32_e32 v30, v116, v115
	v_fmac_f32_e32 v125, 0x3f575c64, v95
	v_mul_f32_e32 v116, 0x3e903f40, v22
	v_add_f32_e32 v26, v128, v119
	s_delay_alu instid0(VALU_DEP_3) | instskip(SKIP_1) | instid1(VALU_DEP_4)
	v_add_f32_e32 v29, v125, v111
	v_mul_f32_e32 v111, 0xbf7d64f0, v20
	v_fma_f32 v117, 0xbf75a155, v99, -v116
	v_fmac_f32_e32 v116, 0xbf75a155, v99
	s_delay_alu instid0(VALU_DEP_3) | instskip(SKIP_1) | instid1(VALU_DEP_2)
	v_fma_f32 v115, 0xbe11bafb, v98, -v111
	v_fmac_f32_e32 v111, 0xbe11bafb, v98
	v_add_f32_e32 v115, v0, v115
	s_delay_alu instid0(VALU_DEP_2) | instskip(NEXT) | instid1(VALU_DEP_2)
	v_add_f32_e32 v111, v0, v111
	v_add_f32_e32 v115, v117, v115
	v_mul_f32_e32 v117, 0x3f68dda4, v107
	s_delay_alu instid0(VALU_DEP_3) | instskip(SKIP_1) | instid1(VALU_DEP_3)
	v_dual_add_f32 v111, v116, v111 :: v_dual_mul_f32 v116, 0x3f7d64f0, v22
	v_mul_f32_e32 v22, 0x3f0a6770, v22
	v_fma_f32 v119, 0x3ed4b147, v91, -v117
	v_fmac_f32_e32 v117, 0x3ed4b147, v91
	s_delay_alu instid0(VALU_DEP_2) | instskip(SKIP_1) | instid1(VALU_DEP_3)
	v_add_f32_e32 v115, v119, v115
	v_mul_f32_e32 v119, 0xbf0a6770, v109
	v_add_f32_e32 v111, v117, v111
	v_fma_f32 v117, 0xbe11bafb, v99, -v116
	v_fmac_f32_e32 v116, 0xbe11bafb, v99
	s_delay_alu instid0(VALU_DEP_4) | instskip(SKIP_1) | instid1(VALU_DEP_2)
	v_fma_f32 v120, 0x3f575c64, v93, -v119
	v_fmac_f32_e32 v119, 0x3f575c64, v93
	v_dual_add_f32 v115, v120, v115 :: v_dual_mul_f32 v120, 0xbf4178ce, v114
	s_delay_alu instid0(VALU_DEP_2) | instskip(NEXT) | instid1(VALU_DEP_2)
	v_add_f32_e32 v111, v119, v111
	v_fma_f32 v121, 0xbf27a4f4, v95, -v120
	v_fmac_f32_e32 v120, 0xbf27a4f4, v95
	s_delay_alu instid0(VALU_DEP_2) | instskip(SKIP_1) | instid1(VALU_DEP_1)
	v_add_f32_e32 v27, v121, v115
	v_mul_f32_e32 v115, 0xbf7d64f0, v23
	v_fmamk_f32 v121, v102, 0xbe11bafb, v115
	s_delay_alu instid0(VALU_DEP_1) | instskip(NEXT) | instid1(VALU_DEP_1)
	v_add_f32_e32 v121, v1, v121
	v_add_f32_e32 v121, v123, v121
	v_mul_f32_e32 v123, 0x3f68dda4, v108
	s_delay_alu instid0(VALU_DEP_1) | instskip(NEXT) | instid1(VALU_DEP_1)
	v_fmamk_f32 v124, v92, 0x3ed4b147, v123
	v_dual_add_f32 v121, v124, v121 :: v_dual_mul_f32 v124, 0xbf0a6770, v110
	s_delay_alu instid0(VALU_DEP_1) | instskip(NEXT) | instid1(VALU_DEP_1)
	v_fmamk_f32 v125, v94, 0x3f575c64, v124
	v_add_f32_e32 v121, v125, v121
	v_mul_f32_e32 v125, 0xbf4178ce, v21
	s_delay_alu instid0(VALU_DEP_1) | instskip(NEXT) | instid1(VALU_DEP_1)
	v_fmamk_f32 v126, v97, 0xbf27a4f4, v125
	v_add_f32_e32 v28, v126, v121
	v_mul_f32_e32 v126, 0x3f68dda4, v21
	v_mul_f32_e32 v21, 0xbf7d64f0, v21
	scratch_store_b128 off, v[25:28], off offset:4 ; 16-byte Folded Spill
	v_add_f32_e32 v27, v120, v111
	v_fma_f32 v111, 0xbe11bafb, v102, -v115
	v_fma_f32 v115, 0xbf75a155, v103, -v122
	v_mul_f32_e32 v120, 0x3f7d64f0, v106
	v_mul_f32_e32 v106, 0x3f0a6770, v106
	v_fmamk_f32 v128, v97, 0x3ed4b147, v126
	v_add_f32_e32 v111, v1, v111
	s_delay_alu instid0(VALU_DEP_4) | instskip(NEXT) | instid1(VALU_DEP_2)
	v_fmamk_f32 v121, v103, 0xbe11bafb, v120
	v_add_f32_e32 v111, v115, v111
	v_fma_f32 v115, 0x3ed4b147, v92, -v123
	s_delay_alu instid0(VALU_DEP_1) | instskip(SKIP_1) | instid1(VALU_DEP_1)
	v_add_f32_e32 v111, v115, v111
	v_fma_f32 v115, 0x3f575c64, v94, -v124
	v_add_f32_e32 v111, v115, v111
	v_fma_f32 v115, 0xbf27a4f4, v97, -v125
	s_delay_alu instid0(VALU_DEP_1) | instskip(SKIP_1) | instid1(VALU_DEP_2)
	v_dual_add_f32 v28, v115, v111 :: v_dual_mul_f32 v111, 0xbf4178ce, v20
	v_mul_f32_e32 v20, 0xbe903f40, v20
	v_fma_f32 v115, 0xbf27a4f4, v98, -v111
	v_fmac_f32_e32 v111, 0xbf27a4f4, v98
	s_delay_alu instid0(VALU_DEP_2) | instskip(NEXT) | instid1(VALU_DEP_2)
	v_add_f32_e32 v115, v0, v115
	v_add_f32_e32 v111, v0, v111
	s_delay_alu instid0(VALU_DEP_2) | instskip(SKIP_1) | instid1(VALU_DEP_3)
	v_add_f32_e32 v115, v117, v115
	v_mul_f32_e32 v117, 0xbf4178ce, v23
	v_add_f32_e32 v111, v116, v111
	v_fma_f32 v116, 0xbe11bafb, v103, -v120
	v_mul_f32_e32 v23, 0xbe903f40, v23
	s_delay_alu instid0(VALU_DEP_4) | instskip(NEXT) | instid1(VALU_DEP_1)
	v_fmamk_f32 v119, v102, 0xbf27a4f4, v117
	v_add_f32_e32 v119, v1, v119
	s_delay_alu instid0(VALU_DEP_1) | instskip(SKIP_2) | instid1(VALU_DEP_2)
	v_add_f32_e32 v119, v121, v119
	v_mul_f32_e32 v121, 0xbf0a6770, v107
	v_mul_f32_e32 v107, 0xbf4178ce, v107
	v_fma_f32 v122, 0x3f575c64, v91, -v121
	v_fmac_f32_e32 v121, 0x3f575c64, v91
	s_delay_alu instid0(VALU_DEP_2) | instskip(NEXT) | instid1(VALU_DEP_2)
	v_dual_add_f32 v115, v122, v115 :: v_dual_mul_f32 v122, 0xbf0a6770, v108
	v_dual_add_f32 v111, v121, v111 :: v_dual_mul_f32 v108, 0xbf4178ce, v108
	s_delay_alu instid0(VALU_DEP_2) | instskip(NEXT) | instid1(VALU_DEP_1)
	v_fmamk_f32 v123, v92, 0x3f575c64, v122
	v_add_f32_e32 v119, v123, v119
	v_mul_f32_e32 v123, 0xbe903f40, v109
	v_mul_f32_e32 v109, 0x3f68dda4, v109
	s_delay_alu instid0(VALU_DEP_2) | instskip(SKIP_1) | instid1(VALU_DEP_2)
	v_fma_f32 v124, 0xbf75a155, v93, -v123
	v_fmac_f32_e32 v123, 0xbf75a155, v93
	v_dual_add_f32 v115, v124, v115 :: v_dual_mul_f32 v124, 0xbe903f40, v110
	scratch_store_b128 off, v[27:30], off offset:28 ; 16-byte Folded Spill
	v_dual_add_f32 v111, v123, v111 :: v_dual_mul_f32 v110, 0x3f68dda4, v110
	v_fmamk_f32 v125, v94, 0xbf75a155, v124
	s_delay_alu instid0(VALU_DEP_1) | instskip(SKIP_2) | instid1(VALU_DEP_3)
	v_add_f32_e32 v119, v125, v119
	v_mul_f32_e32 v125, 0x3f68dda4, v114
	v_mul_f32_e32 v114, 0xbf7d64f0, v114
	v_add_f32_e32 v30, v128, v119
	s_delay_alu instid0(VALU_DEP_3) | instskip(SKIP_1) | instid1(VALU_DEP_2)
	v_fma_f32 v127, 0x3ed4b147, v95, -v125
	v_fmac_f32_e32 v125, 0x3ed4b147, v95
	v_add_f32_e32 v29, v127, v115
	v_fma_f32 v115, 0xbf27a4f4, v102, -v117
	s_delay_alu instid0(VALU_DEP_3) | instskip(SKIP_1) | instid1(VALU_DEP_3)
	v_add_f32_e32 v27, v125, v111
	v_fma_f32 v111, 0xbf75a155, v98, -v20
	v_dual_fmac_f32 v20, 0xbf75a155, v98 :: v_dual_add_f32 v115, v1, v115
	s_delay_alu instid0(VALU_DEP_2) | instskip(NEXT) | instid1(VALU_DEP_2)
	v_add_f32_e32 v111, v0, v111
	v_add_f32_e32 v20, v0, v20
	s_delay_alu instid0(VALU_DEP_3) | instskip(SKIP_1) | instid1(VALU_DEP_1)
	v_add_f32_e32 v115, v116, v115
	v_fma_f32 v116, 0x3f575c64, v92, -v122
	v_add_f32_e32 v115, v116, v115
	v_fma_f32 v116, 0xbf75a155, v94, -v124
	s_delay_alu instid0(VALU_DEP_1) | instskip(SKIP_1) | instid1(VALU_DEP_1)
	v_add_f32_e32 v115, v116, v115
	v_fma_f32 v116, 0x3ed4b147, v97, -v126
	v_add_f32_e32 v28, v116, v115
	v_fma_f32 v115, 0x3f575c64, v99, -v22
	v_fmac_f32_e32 v22, 0x3f575c64, v99
	s_delay_alu instid0(VALU_DEP_2) | instskip(SKIP_1) | instid1(VALU_DEP_3)
	v_add_f32_e32 v111, v115, v111
	v_fma_f32 v115, 0xbf27a4f4, v91, -v107
	v_dual_add_f32 v20, v22, v20 :: v_dual_fmac_f32 v107, 0xbf27a4f4, v91
	v_fma_f32 v22, 0x3f575c64, v103, -v106
	s_delay_alu instid0(VALU_DEP_3) | instskip(SKIP_1) | instid1(VALU_DEP_4)
	v_add_f32_e32 v111, v115, v111
	v_fma_f32 v115, 0x3ed4b147, v93, -v109
	v_dual_add_f32 v20, v107, v20 :: v_dual_fmac_f32 v109, 0x3ed4b147, v93
	s_delay_alu instid0(VALU_DEP_2) | instskip(SKIP_1) | instid1(VALU_DEP_3)
	v_add_f32_e32 v111, v115, v111
	v_fma_f32 v115, 0xbe11bafb, v95, -v114
	v_add_f32_e32 v20, v109, v20
	v_fmac_f32_e32 v114, 0xbe11bafb, v95
	s_delay_alu instid0(VALU_DEP_3) | instskip(SKIP_1) | instid1(VALU_DEP_3)
	v_add_f32_e32 v31, v115, v111
	v_fmamk_f32 v111, v102, 0xbf75a155, v23
	v_add_f32_e32 v25, v114, v20
	v_fma_f32 v20, 0xbf75a155, v102, -v23
	v_fmamk_f32 v115, v103, 0x3f575c64, v106
	s_delay_alu instid0(VALU_DEP_4) | instskip(NEXT) | instid1(VALU_DEP_1)
	v_add_f32_e32 v111, v1, v111
	v_dual_add_f32 v20, v1, v20 :: v_dual_add_f32 v111, v115, v111
	s_delay_alu instid0(VALU_DEP_1) | instskip(SKIP_1) | instid1(VALU_DEP_2)
	v_dual_fmamk_f32 v115, v92, 0xbf27a4f4, v108 :: v_dual_add_f32 v20, v22, v20
	v_fma_f32 v22, 0xbf27a4f4, v92, -v108
	v_add_f32_e32 v111, v115, v111
	v_fmamk_f32 v115, v94, 0x3ed4b147, v110
	s_delay_alu instid0(VALU_DEP_3) | instskip(SKIP_1) | instid1(VALU_DEP_3)
	v_add_f32_e32 v20, v22, v20
	v_fma_f32 v22, 0x3ed4b147, v94, -v110
	v_add_f32_e32 v111, v115, v111
	s_delay_alu instid0(VALU_DEP_2) | instskip(SKIP_1) | instid1(VALU_DEP_2)
	v_dual_fmamk_f32 v115, v97, 0xbe11bafb, v21 :: v_dual_add_f32 v20, v22, v20
	v_fma_f32 v21, 0xbe11bafb, v97, -v21
	v_add_f32_e32 v32, v115, v111
	s_delay_alu instid0(VALU_DEP_2)
	v_add_f32_e32 v26, v21, v20
	v_and_b32_e32 v20, 0xffff, v101
	s_clause 0x2
	scratch_store_b128 off, v[29:32], off offset:60
	scratch_store_b128 off, v[25:28], off offset:44
	scratch_store_b32 off, v24, off offset:464
	ds_store_b64 v24, v[104:105] offset:560
	scratch_store_b32 off, v20, off offset:456 ; 4-byte Folded Spill
	s_and_saveexec_b32 s0, vcc_lo
	s_cbranch_execz .LBB0_5
; %bb.4:
	v_dual_mul_f32 v20, 0x3f575c64, v98 :: v_dual_add_f32 v7, v0, v7
	v_dual_mul_f32 v21, 0x3f575c64, v102 :: v_dual_add_f32 v98, v1, v100
	v_mul_f32_e32 v22, 0x3ed4b147, v99
	s_delay_alu instid0(VALU_DEP_3) | instskip(SKIP_1) | instid1(VALU_DEP_4)
	v_dual_mul_f32 v23, 0x3ed4b147, v103 :: v_dual_add_f32 v6, v7, v6
	v_mul_f32_e32 v93, 0xbf27a4f4, v93
	v_add_f32_e32 v9, v98, v9
	s_delay_alu instid0(VALU_DEP_4) | instskip(NEXT) | instid1(VALU_DEP_4)
	v_dual_sub_f32 v5, v20, v5 :: v_dual_sub_f32 v4, v22, v4
	v_add_f32_e32 v6, v6, v14
	v_mul_f32_e32 v7, 0xbf27a4f4, v94
	s_delay_alu instid0(VALU_DEP_4) | instskip(NEXT) | instid1(VALU_DEP_3)
	v_dual_add_f32 v9, v9, v17 :: v_dual_mul_f32 v94, 0xbf75a155, v95
	v_dual_add_f32 v21, v83, v21 :: v_dual_add_f32 v6, v6, v12
	v_add_f32_e32 v12, v82, v23
	s_delay_alu instid0(VALU_DEP_3) | instskip(SKIP_1) | instid1(VALU_DEP_4)
	v_dual_mul_f32 v14, 0xbf75a155, v97 :: v_dual_add_f32 v9, v9, v16
	v_dual_add_f32 v0, v0, v5 :: v_dual_mul_f32 v91, 0xbe11bafb, v91
	v_dual_mul_f32 v92, 0xbe11bafb, v92 :: v_dual_add_f32 v1, v1, v21
	v_add_f32_e32 v6, v6, v11
	s_delay_alu instid0(VALU_DEP_3) | instskip(SKIP_1) | instid1(VALU_DEP_4)
	v_dual_add_f32 v5, v9, v15 :: v_dual_add_f32 v0, v4, v0
	v_add_f32_e32 v7, v86, v7
	v_add_f32_e32 v1, v12, v1
	s_delay_alu instid0(VALU_DEP_3) | instskip(SKIP_1) | instid1(VALU_DEP_2)
	v_dual_add_f32 v4, v5, v13 :: v_dual_add_f32 v5, v6, v10
	v_sub_f32_e32 v6, v91, v80
	v_add_f32_e32 v4, v4, v96
	v_add_f32_e32 v9, v85, v92
	s_delay_alu instid0(VALU_DEP_3) | instskip(SKIP_1) | instid1(VALU_DEP_3)
	v_add_f32_e32 v0, v6, v0
	v_sub_f32_e32 v6, v93, v81
	v_dual_add_f32 v4, v4, v90 :: v_dual_add_f32 v1, v9, v1
	v_add_f32_e32 v5, v5, v88
	scratch_load_b32 v9, off, off offset:456 ; 4-byte Folded Reload
	v_add_f32_e32 v4, v4, v89
	v_add_f32_e32 v1, v7, v1
	;; [unrolled: 1-line block ×3, first 2 shown]
	v_dual_add_f32 v5, v5, v19 :: v_dual_add_f32 v0, v6, v0
	s_delay_alu instid0(VALU_DEP_1)
	v_dual_sub_f32 v6, v94, v84 :: v_dual_add_f32 v5, v5, v18
	v_add_f32_e32 v3, v4, v3
	scratch_load_b32 v4, off, off offset:364 ; 4-byte Folded Reload
	v_dual_add_f32 v1, v7, v1 :: v_dual_add_f32 v0, v6, v0
	v_add_f32_e32 v2, v5, v2
	s_waitcnt vmcnt(1)
	v_mul_u32_u24_e32 v9, 0x4d, v9
	s_waitcnt vmcnt(0)
	s_delay_alu instid0(VALU_DEP_1)
	v_add_lshl_u32 v4, v9, v4, 3
	ds_store_2addr_b64 v4, v[2:3], v[0:1] offset1:7
	scratch_load_b128 v[0:3], off, off offset:4 ; 16-byte Folded Reload
	s_waitcnt vmcnt(0)
	ds_store_2addr_b64 v4, v[0:1], v[2:3] offset0:14 offset1:21
	scratch_load_b128 v[0:3], off, off offset:60 ; 16-byte Folded Reload
	s_waitcnt vmcnt(0)
	ds_store_2addr_b64 v4, v[0:1], v[2:3] offset0:28 offset1:35
	;; [unrolled: 3-line block ×4, first 2 shown]
	scratch_load_b64 v[0:1], off, off offset:20 ; 8-byte Folded Reload
	s_waitcnt vmcnt(0)
	ds_store_b64 v4, v[0:1] offset:560
.LBB0_5:
	s_or_b32 exec_lo, exec_lo, s0
	scratch_load_b32 v9, off, off           ; 4-byte Folded Reload
	s_waitcnt vmcnt(0) lgkmcnt(0)
	s_waitcnt_vscnt null, 0x0
	s_barrier
	buffer_gl0_inv
	v_mul_lo_u16 v5, 0xd5, v8
	v_mul_lo_u16 v7, 0xd5, v118
	v_add_co_u32 v0, s0, 0xffffffea, v9
	s_delay_alu instid0(VALU_DEP_1)
	v_add_co_ci_u32_e64 v1, null, 0, -1, s0
	v_cmp_gt_u16_e64 s0, 22, v9
	v_lshlrev_b32_e32 v15, 5, v9
	s_clause 0x1
	global_load_b128 v[80:83], v15, s[10:11] offset:560
	global_load_b128 v[92:95], v15, s[10:11] offset:576
	v_cndmask_b32_e64 v0, v0, v211, s0
	v_cndmask_b32_e64 v1, v1, v113, s0
	v_add_nc_u32_e32 v25, 0x1800, v112
	v_add_nc_u32_e32 v10, 0x3000, v112
	v_add_nc_u32_e32 v24, 0x800, v112
	v_add_nc_u32_e32 v16, 0x2000, v112
	v_lshlrev_b64 v[1:2], 5, v[0:1]
	s_delay_alu instid0(VALU_DEP_1) | instskip(NEXT) | instid1(VALU_DEP_1)
	v_add_co_u32 v1, s0, s10, v1
	v_add_co_ci_u32_e64 v2, s0, s11, v2, s0
	s_clause 0x1
	global_load_b128 v[88:91], v[1:2], off offset:560
	global_load_b128 v[84:87], v[1:2], off offset:576
	ds_load_2addr_b64 v[1:4], v25 offset0:2 offset1:57
	ds_load_2addr_b64 v[11:14], v10 offset0:4 offset1:59
	;; [unrolled: 1-line block ×4, first 2 shown]
	ds_load_2addr_b64 v[178:181], v112 offset1:55
	v_add_nc_u32_e32 v22, 0x400, v112
	s_waitcnt vmcnt(3) lgkmcnt(4)
	v_mul_f32_e32 v6, v2, v83
	v_mul_f32_e32 v225, v1, v83
	s_waitcnt vmcnt(2) lgkmcnt(3)
	v_mul_f32_e32 v217, v11, v95
	s_waitcnt lgkmcnt(2)
	v_dual_mul_f32 v8, v12, v95 :: v_dual_mul_f32 v17, v155, v81
	s_waitcnt lgkmcnt(1)
	v_dual_mul_f32 v18, v159, v93 :: v_dual_fmac_f32 v225, v2, v82
	v_dual_mul_f32 v226, v158, v93 :: v_dual_fmac_f32 v217, v12, v94
	v_mul_f32_e32 v227, v154, v81
	v_fma_f32 v229, v1, v82, -v6
	v_fma_f32 v230, v11, v94, -v8
	s_delay_alu instid0(VALU_DEP_4) | instskip(SKIP_4) | instid1(VALU_DEP_4)
	v_fmac_f32_e32 v226, v159, v92
	v_fma_f32 v231, v154, v80, -v17
	v_fma_f32 v232, v158, v92, -v18
	v_fmac_f32_e32 v227, v155, v80
	v_lshrrev_b16 v155, 14, v7
	v_dual_sub_f32 v2, v231, v229 :: v_dual_add_nc_u32 v17, 0x2800, v112
	s_delay_alu instid0(VALU_DEP_4)
	v_sub_f32_e32 v237, v229, v232
	s_waitcnt vmcnt(1)
	v_mul_f32_e32 v1, v4, v91
	v_mul_f32_e32 v212, v3, v91
	s_waitcnt vmcnt(0)
	v_mul_f32_e32 v6, v14, v87
	v_mul_f32_e32 v213, v13, v87
	v_dual_add_f32 v8, v225, v226 :: v_dual_sub_f32 v11, v227, v225
	v_fma_f32 v214, v3, v90, -v1
	v_dual_sub_f32 v1, v230, v232 :: v_dual_fmac_f32 v212, v4, v90
	s_waitcnt lgkmcnt(0)
	v_dual_add_f32 v3, v229, v232 :: v_dual_add_f32 v4, v178, v231
	v_fma_f32 v215, v13, v86, -v6
	v_dual_fmac_f32 v213, v14, v86 :: v_dual_add_f32 v6, v179, v227
	s_delay_alu instid0(VALU_DEP_3) | instskip(SKIP_2) | instid1(VALU_DEP_4)
	v_dual_sub_f32 v12, v217, v226 :: v_dual_add_f32 v13, v4, v229
	v_add_f32_e32 v228, v2, v1
	v_fma_f32 v4, -0.5, v8, v179
	v_add_f32_e32 v6, v6, v225
	v_add_co_u32 v14, null, 0x113, v9
	v_add_f32_e32 v1, v13, v232
	v_lshrrev_b16 v13, 14, v5
	s_delay_alu instid0(VALU_DEP_4) | instskip(SKIP_3) | instid1(VALU_DEP_4)
	v_add_f32_e32 v2, v6, v226
	v_and_b32_e32 v8, 0xffff, v224
	v_and_b32_e32 v7, 0xffff, v14
	v_add_f32_e32 v5, v1, v230
	v_dual_sub_f32 v235, v231, v230 :: v_dual_add_f32 v6, v2, v217
	v_mul_lo_u16 v2, 0x4d, v13
	v_add_co_u32 v13, null, 0x14a, v9
	v_mul_u32_u24_e32 v1, 0x1a99, v8
	v_mul_u32_u24_e32 v7, 0x1a99, v7
	s_delay_alu instid0(VALU_DEP_4) | instskip(NEXT) | instid1(VALU_DEP_4)
	v_sub_nc_u16 v2, v223, v2
	v_dual_add_f32 v233, v11, v12 :: v_dual_and_b32 v8, 0xffff, v13
	s_delay_alu instid0(VALU_DEP_4) | instskip(NEXT) | instid1(VALU_DEP_4)
	v_lshrrev_b32_e32 v101, 19, v1
	v_lshrrev_b32_e32 v19, 19, v7
	s_delay_alu instid0(VALU_DEP_4) | instskip(NEXT) | instid1(VALU_DEP_4)
	v_and_b32_e32 v154, 0xff, v2
	v_mul_u32_u24_e32 v8, 0x1a99, v8
	v_mul_lo_u16 v11, 0x4d, v155
	v_mul_lo_u16 v2, 0x4d, v101
	v_fma_f32 v3, -0.5, v3, v178
	v_lshlrev_b32_e32 v21, 5, v154
	v_lshrrev_b32_e32 v1, 19, v8
	v_sub_nc_u16 v11, v210, v11
	v_sub_nc_u16 v115, v224, v2
	v_mul_lo_u16 v2, 0x4d, v19
	v_fmamk_f32 v8, v235, 0xbf737871, v4
	v_mul_lo_u16 v1, 0x4d, v1
	v_and_b32_e32 v216, 0xff, v11
	v_add_nc_u32_e32 v12, 0x3400, v112
	v_sub_nc_u16 v100, v14, v2
	v_add_nc_u32_e32 v27, 0x1000, v112
	v_sub_nc_u16 v18, v13, v1
	v_lshlrev_b16 v1, 5, v115
	v_mov_b32_e32 v26, v12
	v_lshlrev_b16 v2, 5, v100
	v_sub_f32_e32 v234, v227, v217
	v_lshlrev_b16 v7, 5, v18
	v_dual_sub_f32 v236, v225, v226 :: v_dual_and_b32 v1, 0xffff, v1
	s_delay_alu instid0(VALU_DEP_4) | instskip(SKIP_1) | instid1(VALU_DEP_4)
	v_and_b32_e32 v2, 0xffff, v2
	v_lshlrev_b32_e32 v20, 5, v216
	v_and_b32_e32 v11, 0xffff, v7
	s_delay_alu instid0(VALU_DEP_4) | instskip(NEXT) | instid1(VALU_DEP_1)
	v_add_co_u32 v96, s0, s10, v1
	v_add_co_ci_u32_e64 v97, null, s11, 0, s0
	v_add_co_u32 v98, s0, s10, v2
	s_delay_alu instid0(VALU_DEP_1) | instskip(SKIP_1) | instid1(VALU_DEP_1)
	v_add_co_ci_u32_e64 v99, null, s11, 0, s0
	v_add_co_u32 v136, s0, s10, v11
	v_add_co_ci_u32_e64 v137, null, s11, 0, s0
	v_fmamk_f32 v7, v234, 0x3f737871, v3
	ds_load_b64 v[1:2], v112 offset:14960
	s_clause 0x9
	global_load_b128 v[132:135], v[96:97], off offset:560
	global_load_b128 v[128:131], v[96:97], off offset:576
	;; [unrolled: 1-line block ×6, first 2 shown]
	global_load_b128 v[148:151], v20, s[10:11] offset:560
	global_load_b128 v[144:147], v20, s[10:11] offset:576
	;; [unrolled: 1-line block ×4, first 2 shown]
	ds_load_2addr_b64 v[190:193], v112 offset0:110 offset1:165
	ds_load_2addr_b64 v[206:209], v24 offset0:184 offset1:239
	;; [unrolled: 1-line block ×8, first 2 shown]
	v_fmac_f32_e32 v3, 0xbf737871, v234
	v_fmac_f32_e32 v4, 0x3f737871, v235
	v_add_nc_u32_e32 v11, 0x1c00, v112
	v_fmac_f32_e32 v8, 0xbf167918, v237
	ds_load_2addr_b64 v[174:177], v11 offset0:94 offset1:149
	ds_load_2addr_b64 v[170:173], v12 offset0:96 offset1:151
	v_fmac_f32_e32 v3, 0xbf167918, v236
	v_fmac_f32_e32 v4, 0x3f167918, v237
	ds_load_2addr_b64 v[162:165], v27 offset0:148 offset1:203
	ds_load_2addr_b64 v[158:161], v17 offset0:150 offset1:205
	s_waitcnt vmcnt(0) lgkmcnt(0)
	s_barrier
	v_dual_fmac_f32 v3, 0x3e9e377a, v228 :: v_dual_fmac_f32 v4, 0x3e9e377a, v233
	buffer_gl0_inv
	v_fmac_f32_e32 v8, 0x3e9e377a, v233
	v_sub_f32_e32 v21, v226, v217
	v_cmp_lt_u16_e64 s0, 21, v9
	ds_store_b64 v112, v[3:4] offset:2464
	v_mul_f32_e32 v3, v207, v89
	v_dual_fmac_f32 v7, 0x3f167918, v236 :: v_dual_mov_b32 v28, v22
	v_mad_u16 v101, 0x181, v101, v115
	v_mad_u16 v19, 0x181, v19, v100
	v_and_b32_e32 v18, 0xffff, v18
	s_delay_alu instid0(VALU_DEP_4)
	v_fmac_f32_e32 v7, 0x3e9e377a, v228
	v_lshlrev_b32_e32 v13, 5, v13
	v_and_b32_e32 v101, 0xffff, v101
	ds_store_2addr_b64 v112, v[5:6], v[7:8] offset1:77
	v_dual_sub_f32 v5, v229, v231 :: v_dual_sub_f32 v6, v232, v230
	v_dual_add_f32 v7, v231, v230 :: v_dual_sub_f32 v8, v225, v227
	s_delay_alu instid0(VALU_DEP_2) | instskip(NEXT) | instid1(VALU_DEP_2)
	v_add_f32_e32 v22, v5, v6
	v_fma_f32 v5, -0.5, v7, v178
	s_delay_alu instid0(VALU_DEP_1) | instskip(SKIP_1) | instid1(VALU_DEP_2)
	v_dual_add_f32 v20, v227, v217 :: v_dual_fmamk_f32 v7, v236, 0xbf737871, v5
	v_fmac_f32_e32 v5, 0x3f737871, v236
	v_fma_f32 v6, -0.5, v20, v179
	v_add_f32_e32 v20, v8, v21
	v_mul_f32_e32 v21, v206, v89
	v_fmac_f32_e32 v7, 0x3f167918, v234
	s_delay_alu instid0(VALU_DEP_4) | instskip(NEXT) | instid1(VALU_DEP_3)
	v_fmamk_f32 v8, v237, 0x3f737871, v6
	v_dual_fmac_f32 v6, 0xbf737871, v237 :: v_dual_fmac_f32 v21, v207, v88
	s_delay_alu instid0(VALU_DEP_2) | instskip(NEXT) | instid1(VALU_DEP_2)
	v_dual_fmac_f32 v5, 0xbf167918, v234 :: v_dual_fmac_f32 v8, 0xbf167918, v235
	v_fmac_f32_e32 v6, 0x3f167918, v235
	v_fmac_f32_e32 v7, 0x3e9e377a, v22
	s_delay_alu instid0(VALU_DEP_3) | instskip(NEXT) | instid1(VALU_DEP_4)
	v_fmac_f32_e32 v5, 0x3e9e377a, v22
	v_dual_sub_f32 v103, v21, v213 :: v_dual_fmac_f32 v8, 0x3e9e377a, v20
	s_delay_alu instid0(VALU_DEP_4)
	v_fmac_f32_e32 v6, 0x3e9e377a, v20
	v_mul_f32_e32 v20, v202, v85
	ds_store_2addr_b64 v112, v[7:8], v[5:6] offset0:154 offset1:231
	v_cndmask_b32_e64 v5, 0, 0x181, s0
	v_fma_f32 v7, v206, v88, -v3
	v_fmac_f32_e32 v20, v203, v84
	s_delay_alu instid0(VALU_DEP_3) | instskip(SKIP_1) | instid1(VALU_DEP_4)
	v_add_lshl_u32 v12, v0, v5, 3
	v_mul_f32_e32 v0, v203, v85
	v_add_f32_e32 v4, v7, v215
	s_delay_alu instid0(VALU_DEP_4)
	v_sub_f32_e32 v102, v212, v20
	v_add_f32_e32 v8, v180, v7
	v_sub_f32_e32 v120, v7, v215
	v_fma_f32 v0, v202, v84, -v0
	v_add_f32_e32 v22, v181, v21
	scratch_store_b32 off, v12, off offset:468 ; 4-byte Folded Spill
	v_add_f32_e32 v3, v214, v0
	v_dual_sub_f32 v5, v0, v215 :: v_dual_sub_f32 v114, v214, v0
	s_delay_alu instid0(VALU_DEP_2) | instskip(SKIP_2) | instid1(VALU_DEP_1)
	v_fma_f32 v3, -0.5, v3, v180
	v_fma_f32 v180, -0.5, v4, v180
	v_dual_sub_f32 v4, v214, v7 :: v_dual_sub_f32 v23, v20, v213
	v_add_f32_e32 v6, v4, v5
	v_dual_add_f32 v4, v212, v20 :: v_dual_add_f32 v5, v21, v213
	s_delay_alu instid0(VALU_DEP_1) | instskip(NEXT) | instid1(VALU_DEP_2)
	v_fma_f32 v4, -0.5, v4, v181
	v_fmac_f32_e32 v181, -0.5, v5
	v_sub_f32_e32 v5, v212, v21
	s_delay_alu instid0(VALU_DEP_1) | instskip(SKIP_2) | instid1(VALU_DEP_2)
	v_add_f32_e32 v23, v5, v23
	v_fmamk_f32 v5, v102, 0xbf737871, v180
	v_fmac_f32_e32 v180, 0x3f737871, v102
	v_fmac_f32_e32 v5, 0x3f167918, v103
	s_delay_alu instid0(VALU_DEP_2) | instskip(NEXT) | instid1(VALU_DEP_2)
	v_fmac_f32_e32 v180, 0xbf167918, v103
	v_fmac_f32_e32 v5, 0x3e9e377a, v6
	s_delay_alu instid0(VALU_DEP_2)
	v_fmac_f32_e32 v180, 0x3e9e377a, v6
	v_fmamk_f32 v6, v114, 0x3f737871, v181
	v_fmac_f32_e32 v181, 0xbf737871, v114
	v_mul_f32_e32 v121, v208, v149
	v_mul_f32_e32 v123, v204, v145
	;; [unrolled: 1-line block ×4, first 2 shown]
	s_delay_alu instid0(VALU_DEP_4) | instskip(SKIP_3) | instid1(VALU_DEP_3)
	v_fmac_f32_e32 v121, v209, v148
	v_fmac_f32_e32 v6, 0xbf167918, v120
	;; [unrolled: 1-line block ×4, first 2 shown]
	v_dual_sub_f32 v7, v7, v214 :: v_dual_fmac_f32 v6, 0x3e9e377a, v23
	s_delay_alu instid0(VALU_DEP_3) | instskip(SKIP_2) | instid1(VALU_DEP_1)
	v_fmac_f32_e32 v181, 0x3e9e377a, v23
	ds_store_2addr_b64 v12, v[5:6], v[180:181] offset0:154 offset1:231
	v_dual_mul_f32 v5, v209, v149 :: v_dual_add_f32 v6, v22, v212
	v_fma_f32 v23, v208, v148, -v5
	s_delay_alu instid0(VALU_DEP_2) | instskip(SKIP_1) | instid1(VALU_DEP_2)
	v_dual_mul_f32 v5, v205, v145 :: v_dual_add_f32 v6, v6, v20
	v_sub_f32_e32 v20, v213, v20
	v_fma_f32 v122, v204, v144, -v5
	s_delay_alu instid0(VALU_DEP_3) | instskip(NEXT) | instid1(VALU_DEP_1)
	v_dual_mul_f32 v5, v199, v151 :: v_dual_add_f32 v6, v6, v213
	v_fma_f32 v124, v198, v150, -v5
	v_mul_f32_e32 v5, v201, v143
	s_delay_alu instid0(VALU_DEP_1) | instskip(SKIP_1) | instid1(VALU_DEP_1)
	v_fma_f32 v126, v200, v142, -v5
	v_mul_f32_e32 v5, v195, v147
	v_fma_f32 v178, v194, v146, -v5
	s_delay_alu instid0(VALU_DEP_1) | instskip(NEXT) | instid1(VALU_DEP_1)
	v_dual_mul_f32 v5, v197, v139 :: v_dual_sub_f32 v22, v23, v178
	v_fma_f32 v180, v196, v138, -v5
	v_dual_add_f32 v5, v8, v214 :: v_dual_sub_f32 v8, v21, v212
	v_fmac_f32_e32 v125, v199, v150
	s_delay_alu instid0(VALU_DEP_2) | instskip(SKIP_1) | instid1(VALU_DEP_4)
	v_add_f32_e32 v5, v5, v0
	v_dual_sub_f32 v0, v215, v0 :: v_dual_mul_f32 v179, v194, v147
	v_add_f32_e32 v20, v8, v20
	v_fmamk_f32 v8, v120, 0xbf737871, v4
	v_fmac_f32_e32 v4, 0x3f737871, v120
	s_delay_alu instid0(VALU_DEP_4)
	v_add_f32_e32 v0, v7, v0
	v_fmac_f32_e32 v179, v195, v146
	v_fmamk_f32 v7, v103, 0x3f737871, v3
	v_fmac_f32_e32 v3, 0xbf737871, v103
	v_dual_fmac_f32 v4, 0x3f167918, v114 :: v_dual_mul_f32 v181, v196, v139
	v_fmac_f32_e32 v8, 0xbf167918, v114
	s_delay_alu instid0(VALU_DEP_4) | instskip(NEXT) | instid1(VALU_DEP_4)
	v_fmac_f32_e32 v7, 0x3f167918, v102
	v_fmac_f32_e32 v3, 0xbf167918, v102
	s_delay_alu instid0(VALU_DEP_4) | instskip(NEXT) | instid1(VALU_DEP_4)
	v_dual_fmac_f32 v4, 0x3e9e377a, v20 :: v_dual_fmac_f32 v127, v201, v142
	v_dual_fmac_f32 v181, v197, v138 :: v_dual_fmac_f32 v8, 0x3e9e377a, v20
	s_delay_alu instid0(VALU_DEP_3)
	v_fmac_f32_e32 v3, 0x3e9e377a, v0
	v_add_f32_e32 v5, v5, v215
	v_sub_f32_e32 v21, v121, v179
	v_dual_sub_f32 v102, v125, v123 :: v_dual_sub_f32 v103, v124, v122
	ds_store_b64 v12, v[3:4] offset:2464
	v_dual_add_f32 v4, v125, v123 :: v_dual_fmac_f32 v7, 0x3e9e377a, v0
	v_dual_sub_f32 v3, v178, v122 :: v_dual_and_b32 v0, 0xffff, v155
	v_sub_f32_e32 v114, v123, v179
	s_delay_alu instid0(VALU_DEP_3)
	v_fma_f32 v4, -0.5, v4, v191
	ds_store_2addr_b64 v12, v[5:6], v[7:8] offset1:77
	v_mul_u32_u24_e32 v0, 0x181, v0
	v_dual_sub_f32 v5, v121, v125 :: v_dual_sub_f32 v6, v179, v123
	v_fmamk_f32 v8, v22, 0xbf737871, v4
	v_fmac_f32_e32 v4, 0x3f737871, v22
	s_delay_alu instid0(VALU_DEP_4) | instskip(SKIP_4) | instid1(VALU_DEP_4)
	v_add_lshl_u32 v12, v0, v216, 3
	v_sub_f32_e32 v0, v23, v124
	v_add_f32_e32 v20, v5, v6
	v_dual_add_f32 v6, v191, v121 :: v_dual_add_f32 v5, v190, v23
	v_fmac_f32_e32 v8, 0xbf167918, v103
	v_add_f32_e32 v0, v0, v3
	v_fmac_f32_e32 v4, 0x3f167918, v103
	s_delay_alu instid0(VALU_DEP_4) | instskip(SKIP_2) | instid1(VALU_DEP_4)
	v_dual_add_f32 v6, v6, v125 :: v_dual_add_f32 v3, v124, v122
	v_add_f32_e32 v5, v5, v124
	v_fmac_f32_e32 v8, 0x3e9e377a, v20
	v_fmac_f32_e32 v4, 0x3e9e377a, v20
	s_delay_alu instid0(VALU_DEP_4)
	v_add_f32_e32 v6, v6, v123
	v_fma_f32 v3, -0.5, v3, v190
	v_dual_add_f32 v5, v5, v122 :: v_dual_mul_f32 v20, v182, v137
	scratch_store_b32 off, v12, off offset:472 ; 4-byte Folded Spill
	v_dual_add_f32 v6, v6, v179 :: v_dual_fmamk_f32 v7, v21, 0x3f737871, v3
	v_add_f32_e32 v5, v5, v178
	s_delay_alu instid0(VALU_DEP_2) | instskip(NEXT) | instid1(VALU_DEP_1)
	v_fmac_f32_e32 v7, 0x3f167918, v102
	v_fmac_f32_e32 v7, 0x3e9e377a, v0
	ds_store_2addr_b64 v12, v[5:6], v[7:8] offset1:77
	v_dual_sub_f32 v5, v124, v23 :: v_dual_sub_f32 v6, v122, v178
	v_add_f32_e32 v7, v23, v178
	v_add_f32_e32 v23, v121, v179
	v_sub_f32_e32 v8, v125, v121
	s_delay_alu instid0(VALU_DEP_4) | instskip(SKIP_1) | instid1(VALU_DEP_4)
	v_dual_fmac_f32 v3, 0xbf737871, v21 :: v_dual_add_f32 v120, v5, v6
	v_mul_f32_e32 v121, v184, v129
	v_fma_f32 v6, -0.5, v23, v191
	s_delay_alu instid0(VALU_DEP_4) | instskip(NEXT) | instid1(VALU_DEP_4)
	v_add_f32_e32 v23, v8, v114
	v_fmac_f32_e32 v3, 0xbf167918, v102
	s_delay_alu instid0(VALU_DEP_3) | instskip(SKIP_2) | instid1(VALU_DEP_4)
	v_fmamk_f32 v8, v103, 0x3f737871, v6
	v_fmac_f32_e32 v6, 0xbf737871, v103
	v_fma_f32 v5, -0.5, v7, v190
	v_dual_fmac_f32 v3, 0x3e9e377a, v0 :: v_dual_mul_f32 v0, v183, v137
	s_delay_alu instid0(VALU_DEP_4) | instskip(NEXT) | instid1(VALU_DEP_4)
	v_fmac_f32_e32 v8, 0xbf167918, v22
	v_fmac_f32_e32 v6, 0x3f167918, v22
	s_delay_alu instid0(VALU_DEP_4)
	v_fmamk_f32 v7, v102, 0xbf737871, v5
	v_fmac_f32_e32 v5, 0x3f737871, v102
	v_fma_f32 v0, v182, v136, -v0
	v_fmac_f32_e32 v8, 0x3e9e377a, v23
	v_fmac_f32_e32 v6, 0x3e9e377a, v23
	;; [unrolled: 1-line block ×4, first 2 shown]
	v_mul_f32_e32 v21, v186, v141
	ds_store_b64 v12, v[3:4] offset:2464
	v_mul_f32_e32 v3, v187, v141
	v_fmac_f32_e32 v7, 0x3e9e377a, v120
	v_fmac_f32_e32 v5, 0x3e9e377a, v120
	v_fmac_f32_e32 v21, v187, v140
	v_fmac_f32_e32 v20, v183, v136
	v_sub_f32_e32 v114, v126, v0
	ds_store_2addr_b64 v12, v[7:8], v[5:6] offset0:154 offset1:231
	v_fma_f32 v7, v186, v140, -v3
	v_dual_add_f32 v3, v126, v0 :: v_dual_add_f32 v22, v193, v21
	v_dual_sub_f32 v102, v127, v20 :: v_dual_sub_f32 v103, v21, v181
	s_delay_alu instid0(VALU_DEP_3) | instskip(SKIP_1) | instid1(VALU_DEP_4)
	v_add_f32_e32 v4, v7, v180
	v_add_f32_e32 v8, v192, v7
	v_fma_f32 v3, -0.5, v3, v192
	v_sub_f32_e32 v120, v7, v180
	v_lshlrev_b32_e32 v12, 3, v154
	v_fma_f32 v192, -0.5, v4, v192
	v_dual_sub_f32 v4, v126, v7 :: v_dual_sub_f32 v5, v0, v180
	v_sub_f32_e32 v7, v7, v126
	scratch_store_b32 off, v12, off offset:476 ; 4-byte Folded Spill
	v_add_f32_e32 v6, v4, v5
	v_dual_add_f32 v5, v21, v181 :: v_dual_add_f32 v4, v127, v20
	v_sub_f32_e32 v23, v20, v181
	s_delay_alu instid0(VALU_DEP_2) | instskip(NEXT) | instid1(VALU_DEP_3)
	v_fma_f32 v4, -0.5, v4, v193
	v_fmac_f32_e32 v193, -0.5, v5
	v_sub_f32_e32 v5, v127, v21
	s_delay_alu instid0(VALU_DEP_1) | instskip(SKIP_2) | instid1(VALU_DEP_2)
	v_add_f32_e32 v23, v5, v23
	v_fmamk_f32 v5, v102, 0xbf737871, v192
	v_fmac_f32_e32 v192, 0x3f737871, v102
	v_fmac_f32_e32 v5, 0x3f167918, v103
	s_delay_alu instid0(VALU_DEP_2) | instskip(NEXT) | instid1(VALU_DEP_2)
	v_fmac_f32_e32 v192, 0xbf167918, v103
	v_fmac_f32_e32 v5, 0x3e9e377a, v6
	s_delay_alu instid0(VALU_DEP_2) | instskip(SKIP_2) | instid1(VALU_DEP_2)
	v_fmac_f32_e32 v192, 0x3e9e377a, v6
	v_fmamk_f32 v6, v114, 0x3f737871, v193
	v_fmac_f32_e32 v193, 0xbf737871, v114
	v_fmac_f32_e32 v6, 0xbf167918, v120
	s_delay_alu instid0(VALU_DEP_2) | instskip(NEXT) | instid1(VALU_DEP_2)
	v_fmac_f32_e32 v193, 0x3f167918, v120
	v_fmac_f32_e32 v6, 0x3e9e377a, v23
	s_delay_alu instid0(VALU_DEP_2) | instskip(SKIP_4) | instid1(VALU_DEP_2)
	v_fmac_f32_e32 v193, 0x3e9e377a, v23
	v_add_nc_u32_e32 v23, 0x1800, v12
	ds_store_2addr_b64 v23, v[5:6], v[192:193] offset0:156 offset1:233
	v_dual_add_f32 v5, v8, v126 :: v_dual_add_f32 v6, v22, v127
	v_sub_f32_e32 v8, v21, v127
	v_dual_mul_f32 v22, v188, v133 :: v_dual_add_f32 v5, v5, v0
	s_delay_alu instid0(VALU_DEP_3) | instskip(SKIP_2) | instid1(VALU_DEP_4)
	v_add_f32_e32 v6, v6, v20
	v_sub_f32_e32 v0, v180, v0
	v_sub_f32_e32 v20, v181, v20
	v_dual_fmac_f32 v22, v189, v132 :: v_dual_mul_f32 v127, v170, v131
	s_delay_alu instid0(VALU_DEP_4) | instskip(NEXT) | instid1(VALU_DEP_4)
	v_add_f32_e32 v6, v6, v181
	v_add_f32_e32 v0, v7, v0
	s_delay_alu instid0(VALU_DEP_4) | instskip(SKIP_2) | instid1(VALU_DEP_3)
	v_dual_fmamk_f32 v7, v103, 0x3f737871, v3 :: v_dual_add_f32 v20, v8, v20
	v_dual_fmamk_f32 v8, v120, 0xbf737871, v4 :: v_dual_add_f32 v5, v5, v180
	v_fmac_f32_e32 v4, 0x3f737871, v120
	v_fmac_f32_e32 v7, 0x3f167918, v102
	s_delay_alu instid0(VALU_DEP_3) | instskip(NEXT) | instid1(VALU_DEP_3)
	v_dual_fmac_f32 v121, v185, v128 :: v_dual_fmac_f32 v8, 0xbf167918, v114
	v_fmac_f32_e32 v4, 0x3f167918, v114
	s_delay_alu instid0(VALU_DEP_3) | instskip(NEXT) | instid1(VALU_DEP_3)
	v_fmac_f32_e32 v7, 0x3e9e377a, v0
	v_fmac_f32_e32 v8, 0x3e9e377a, v20
	ds_store_2addr_b64 v23, v[5:6], v[7:8] offset0:2 offset1:79
	v_mul_f32_e32 v5, v189, v133
	v_dual_mul_f32 v123, v174, v135 :: v_dual_fmac_f32 v4, 0x3e9e377a, v20
	v_add_f32_e32 v6, v167, v22
	s_delay_alu instid0(VALU_DEP_3) | instskip(SKIP_1) | instid1(VALU_DEP_1)
	v_fma_f32 v21, v188, v132, -v5
	v_mul_f32_e32 v5, v185, v129
	v_fma_f32 v23, v184, v128, -v5
	v_mul_f32_e32 v5, v175, v135
	s_delay_alu instid0(VALU_DEP_1) | instskip(SKIP_2) | instid1(VALU_DEP_2)
	v_fma_f32 v122, v174, v134, -v5
	v_mul_f32_e32 v5, v177, v119
	v_mul_f32_e32 v125, v176, v119
	v_fma_f32 v124, v176, v118, -v5
	v_mul_f32_e32 v5, v171, v131
	s_delay_alu instid0(VALU_DEP_1) | instskip(NEXT) | instid1(VALU_DEP_1)
	v_fma_f32 v126, v170, v130, -v5
	v_dual_fmac_f32 v3, 0xbf737871, v103 :: v_dual_sub_f32 v114, v21, v126
	s_delay_alu instid0(VALU_DEP_1) | instskip(SKIP_1) | instid1(VALU_DEP_2)
	v_fmac_f32_e32 v3, 0xbf167918, v102
	v_sub_f32_e32 v115, v122, v23
	v_dual_fmac_f32 v3, 0x3e9e377a, v0 :: v_dual_sub_f32 v0, v21, v122
	ds_store_b64 v12, v[3:4] offset:8624
	v_dual_sub_f32 v3, v126, v23 :: v_dual_lshlrev_b32 v12, 3, v101
	v_fmac_f32_e32 v123, v175, v134
	scratch_store_b32 off, v12, off offset:480 ; 4-byte Folded Spill
	v_add_f32_e32 v0, v0, v3
	v_dual_add_f32 v4, v123, v121 :: v_dual_add_f32 v3, v122, v23
	v_sub_f32_e32 v7, v22, v123
	v_dual_fmac_f32 v125, v177, v118 :: v_dual_add_f32 v6, v6, v123
	s_delay_alu instid0(VALU_DEP_3) | instskip(SKIP_4) | instid1(VALU_DEP_4)
	v_fma_f32 v4, -0.5, v4, v167
	v_fmac_f32_e32 v127, v171, v130
	v_mul_f32_e32 v5, v173, v111
	v_fma_f32 v3, -0.5, v3, v166
	v_add_f32_e32 v6, v6, v121
	v_sub_f32_e32 v8, v127, v121
	s_delay_alu instid0(VALU_DEP_4) | instskip(NEXT) | instid1(VALU_DEP_2)
	v_fma_f32 v154, v172, v110, -v5
	v_dual_mul_f32 v155, v172, v111 :: v_dual_add_f32 v20, v7, v8
	v_fmamk_f32 v8, v114, 0xbf737871, v4
	v_add_f32_e32 v5, v166, v21
	v_dual_sub_f32 v102, v22, v127 :: v_dual_sub_f32 v103, v123, v121
	v_fmac_f32_e32 v4, 0x3f737871, v114
	s_delay_alu instid0(VALU_DEP_3) | instskip(NEXT) | instid1(VALU_DEP_3)
	v_dual_fmac_f32 v8, 0xbf167918, v115 :: v_dual_add_f32 v5, v5, v122
	v_fmamk_f32 v7, v102, 0x3f737871, v3
	v_dual_fmac_f32 v155, v173, v110 :: v_dual_add_f32 v6, v6, v127
	s_delay_alu instid0(VALU_DEP_3) | instskip(NEXT) | instid1(VALU_DEP_3)
	v_dual_fmac_f32 v8, 0x3e9e377a, v20 :: v_dual_add_f32 v5, v5, v23
	v_fmac_f32_e32 v7, 0x3f167918, v103
	v_fmac_f32_e32 v3, 0xbf737871, v102
	s_delay_alu instid0(VALU_DEP_3) | instskip(NEXT) | instid1(VALU_DEP_3)
	v_add_f32_e32 v5, v5, v126
	v_fmac_f32_e32 v7, 0x3e9e377a, v0
	ds_store_2addr_b64 v12, v[5:6], v[7:8] offset1:77
	v_dual_sub_f32 v5, v122, v21 :: v_dual_sub_f32 v6, v23, v126
	v_add_f32_e32 v7, v21, v126
	v_sub_f32_e32 v21, v123, v22
	s_delay_alu instid0(VALU_DEP_3) | instskip(NEXT) | instid1(VALU_DEP_3)
	v_add_f32_e32 v8, v5, v6
	v_fma_f32 v5, -0.5, v7, v166
	v_add_f32_e32 v6, v22, v127
	v_sub_f32_e32 v22, v121, v127
	v_fmac_f32_e32 v3, 0xbf167918, v103
	s_delay_alu instid0(VALU_DEP_4) | instskip(SKIP_2) | instid1(VALU_DEP_4)
	v_fmamk_f32 v7, v103, 0xbf737871, v5
	v_fmac_f32_e32 v5, 0x3f737871, v103
	v_fma_f32 v6, -0.5, v6, v167
	v_dual_fmac_f32 v3, 0x3e9e377a, v0 :: v_dual_mul_f32 v0, v159, v109
	s_delay_alu instid0(VALU_DEP_4) | instskip(NEXT) | instid1(VALU_DEP_4)
	v_fmac_f32_e32 v7, 0x3f167918, v102
	v_fmac_f32_e32 v5, 0xbf167918, v102
	s_delay_alu instid0(VALU_DEP_3) | instskip(NEXT) | instid1(VALU_DEP_3)
	v_fma_f32 v0, v158, v108, -v0
	v_fmac_f32_e32 v7, 0x3e9e377a, v8
	s_delay_alu instid0(VALU_DEP_3) | instskip(SKIP_1) | instid1(VALU_DEP_4)
	v_fmac_f32_e32 v5, 0x3e9e377a, v8
	v_fmamk_f32 v8, v115, 0x3f737871, v6
	v_sub_f32_e32 v100, v124, v0
	s_delay_alu instid0(VALU_DEP_2) | instskip(SKIP_2) | instid1(VALU_DEP_2)
	v_fmac_f32_e32 v8, 0xbf167918, v114
	v_fmac_f32_e32 v4, 0x3f167918, v115
	;; [unrolled: 1-line block ×4, first 2 shown]
	v_dual_mul_f32 v20, v158, v109 :: v_dual_add_f32 v21, v21, v22
	s_delay_alu instid0(VALU_DEP_3)
	v_fmac_f32_e32 v6, 0x3f167918, v114
	ds_store_b64 v12, v[3:4] offset:2464
	v_fmac_f32_e32 v20, v159, v108
	v_fmac_f32_e32 v8, 0x3e9e377a, v21
	;; [unrolled: 1-line block ×3, first 2 shown]
	v_mul_f32_e32 v21, v162, v117
	s_delay_alu instid0(VALU_DEP_4)
	v_dual_sub_f32 v22, v125, v20 :: v_dual_and_b32 v19, 0xffff, v19
	v_mul_f32_e32 v3, v163, v117
	ds_store_2addr_b64 v12, v[7:8], v[5:6] offset0:154 offset1:231
	v_dual_sub_f32 v102, v20, v155 :: v_dual_fmac_f32 v21, v163, v116
	v_sub_f32_e32 v5, v0, v154
	v_fma_f32 v7, v162, v116, -v3
	v_lshlrev_b32_e32 v12, 3, v19
	s_delay_alu instid0(VALU_DEP_4) | instskip(NEXT) | instid1(VALU_DEP_3)
	v_sub_f32_e32 v23, v21, v155
	v_dual_add_f32 v3, v124, v0 :: v_dual_add_f32 v4, v7, v154
	v_dual_add_f32 v8, v168, v7 :: v_dual_sub_f32 v103, v7, v154
	v_add_f32_e32 v101, v169, v21
	s_delay_alu instid0(VALU_DEP_3) | instskip(NEXT) | instid1(VALU_DEP_4)
	v_fma_f32 v3, -0.5, v3, v168
	v_fma_f32 v168, -0.5, v4, v168
	v_sub_f32_e32 v4, v124, v7
	scratch_store_b32 off, v12, off offset:484 ; 4-byte Folded Spill
	v_dual_add_f32 v6, v4, v5 :: v_dual_fmamk_f32 v5, v22, 0xbf737871, v168
	v_fmac_f32_e32 v168, 0x3f737871, v22
	s_delay_alu instid0(VALU_DEP_2) | instskip(NEXT) | instid1(VALU_DEP_2)
	v_dual_add_f32 v4, v125, v20 :: v_dual_fmac_f32 v5, 0x3f167918, v23
	v_fmac_f32_e32 v168, 0xbf167918, v23
	s_delay_alu instid0(VALU_DEP_2)
	v_fma_f32 v4, -0.5, v4, v169
	v_sub_f32_e32 v7, v7, v124
	v_mul_f32_e32 v115, v156, v107
	v_fmac_f32_e32 v5, 0x3e9e377a, v6
	v_fmac_f32_e32 v168, 0x3e9e377a, v6
	v_add_f32_e32 v6, v21, v155
	s_delay_alu instid0(VALU_DEP_1) | instskip(NEXT) | instid1(VALU_DEP_1)
	v_dual_fmac_f32 v169, -0.5, v6 :: v_dual_sub_f32 v6, v125, v21
	v_add_f32_e32 v102, v6, v102
	s_delay_alu instid0(VALU_DEP_2) | instskip(NEXT) | instid1(VALU_DEP_1)
	v_fmamk_f32 v6, v100, 0x3f737871, v169
	v_fmac_f32_e32 v6, 0xbf167918, v103
	v_fmac_f32_e32 v169, 0xbf737871, v100
	s_delay_alu instid0(VALU_DEP_2) | instskip(NEXT) | instid1(VALU_DEP_2)
	v_fmac_f32_e32 v6, 0x3e9e377a, v102
	v_fmac_f32_e32 v169, 0x3f167918, v103
	s_delay_alu instid0(VALU_DEP_1) | instskip(SKIP_4) | instid1(VALU_DEP_3)
	v_dual_fmac_f32 v169, 0x3e9e377a, v102 :: v_dual_mul_f32 v102, v164, v105
	ds_store_2addr_b64 v12, v[5:6], v[168:169] offset0:154 offset1:231
	v_mul_f32_e32 v5, v165, v105
	v_add_f32_e32 v6, v101, v125
	v_fmac_f32_e32 v102, v165, v104
	v_fma_f32 v19, v164, v104, -v5
	s_delay_alu instid0(VALU_DEP_3) | instskip(SKIP_1) | instid1(VALU_DEP_2)
	v_dual_mul_f32 v5, v157, v107 :: v_dual_add_f32 v6, v6, v20
	v_sub_f32_e32 v20, v155, v20
	v_fma_f32 v114, v156, v106, -v5
	s_delay_alu instid0(VALU_DEP_3) | instskip(NEXT) | instid1(VALU_DEP_1)
	v_dual_mul_f32 v5, v161, v97 :: v_dual_add_f32 v6, v6, v155
	v_fma_f32 v120, v160, v96, -v5
	v_dual_add_f32 v5, v8, v124 :: v_dual_sub_f32 v8, v21, v125
	s_delay_alu instid0(VALU_DEP_1) | instskip(SKIP_1) | instid1(VALU_DEP_3)
	v_add_f32_e32 v5, v5, v0
	v_sub_f32_e32 v0, v154, v0
	v_add_f32_e32 v20, v8, v20
	v_fmamk_f32 v8, v103, 0xbf737871, v4
	v_dual_fmac_f32 v4, 0x3f737871, v103 :: v_dual_mul_f32 v121, v160, v97
	s_delay_alu instid0(VALU_DEP_4) | instskip(SKIP_2) | instid1(VALU_DEP_4)
	v_add_f32_e32 v0, v7, v0
	v_fmamk_f32 v7, v23, 0x3f737871, v3
	v_fmac_f32_e32 v3, 0xbf737871, v23
	v_fmac_f32_e32 v4, 0x3f167918, v100
	v_dual_fmac_f32 v8, 0xbf167918, v100 :: v_dual_fmac_f32 v115, v157, v106
	s_delay_alu instid0(VALU_DEP_4) | instskip(NEXT) | instid1(VALU_DEP_4)
	v_fmac_f32_e32 v7, 0x3f167918, v22
	v_fmac_f32_e32 v3, 0xbf167918, v22
	s_delay_alu instid0(VALU_DEP_4) | instskip(NEXT) | instid1(VALU_DEP_4)
	v_fmac_f32_e32 v4, 0x3e9e377a, v20
	v_fmac_f32_e32 v8, 0x3e9e377a, v20
	s_delay_alu instid0(VALU_DEP_4) | instskip(NEXT) | instid1(VALU_DEP_4)
	v_dual_add_f32 v20, v153, v102 :: v_dual_fmac_f32 v7, 0x3e9e377a, v0
	v_fmac_f32_e32 v3, 0x3e9e377a, v0
	v_add_f32_e32 v0, v114, v120
	v_sub_f32_e32 v22, v114, v120
	ds_store_b64 v12, v[3:4] offset:2464
	v_dual_add_f32 v4, v152, v19 :: v_dual_add_f32 v5, v5, v154
	v_fma_f32 v0, -0.5, v0, v152
	ds_store_2addr_b64 v12, v[5:6], v[7:8] offset1:77
	v_mul_f32_e32 v6, v1, v99
	v_dual_fmac_f32 v121, v161, v96 :: v_dual_lshlrev_b32 v12, 3, v18
	s_delay_alu instid0(VALU_DEP_1) | instskip(SKIP_2) | instid1(VALU_DEP_4)
	v_dual_fmac_f32 v6, v2, v98 :: v_dual_sub_f32 v7, v115, v121
	v_mul_f32_e32 v5, v2, v99
	v_sub_f32_e32 v2, v114, v19
	v_add_nc_u32_e32 v18, 0x3000, v12
	s_delay_alu instid0(VALU_DEP_4)
	v_sub_f32_e32 v8, v102, v6
	v_sub_f32_e32 v21, v121, v6
	v_fma_f32 v5, v1, v98, -v5
	scratch_store_b32 off, v12, off offset:488 ; 4-byte Folded Spill
	v_add_f32_e32 v1, v19, v5
	v_sub_f32_e32 v3, v120, v5
	v_sub_f32_e32 v23, v19, v5
	s_delay_alu instid0(VALU_DEP_3) | instskip(NEXT) | instid1(VALU_DEP_1)
	v_fma_f32 v152, -0.5, v1, v152
	v_dual_add_f32 v3, v2, v3 :: v_dual_fmamk_f32 v2, v7, 0xbf737871, v152
	s_delay_alu instid0(VALU_DEP_1) | instskip(NEXT) | instid1(VALU_DEP_1)
	v_fmac_f32_e32 v2, 0x3f167918, v8
	v_dual_fmac_f32 v2, 0x3e9e377a, v3 :: v_dual_add_f32 v1, v115, v121
	v_fmac_f32_e32 v152, 0x3f737871, v7
	s_delay_alu instid0(VALU_DEP_2) | instskip(NEXT) | instid1(VALU_DEP_2)
	v_fma_f32 v1, -0.5, v1, v153
	v_fmac_f32_e32 v152, 0xbf167918, v8
	s_delay_alu instid0(VALU_DEP_1) | instskip(NEXT) | instid1(VALU_DEP_1)
	v_dual_fmac_f32 v152, 0x3e9e377a, v3 :: v_dual_add_f32 v3, v102, v6
	v_fmac_f32_e32 v153, -0.5, v3
	v_sub_f32_e32 v3, v115, v102
	s_delay_alu instid0(VALU_DEP_1) | instskip(NEXT) | instid1(VALU_DEP_3)
	v_add_f32_e32 v21, v3, v21
	v_fmamk_f32 v3, v22, 0x3f737871, v153
	v_fmac_f32_e32 v153, 0xbf737871, v22
	s_delay_alu instid0(VALU_DEP_2) | instskip(NEXT) | instid1(VALU_DEP_2)
	v_fmac_f32_e32 v3, 0xbf167918, v23
	v_fmac_f32_e32 v153, 0x3f167918, v23
	s_delay_alu instid0(VALU_DEP_2) | instskip(NEXT) | instid1(VALU_DEP_2)
	v_fmac_f32_e32 v3, 0x3e9e377a, v21
	v_fmac_f32_e32 v153, 0x3e9e377a, v21
	ds_store_2addr_b64 v18, v[2:3], v[152:153] offset0:158 offset1:235
	v_add_f32_e32 v2, v4, v114
	v_dual_add_f32 v3, v20, v115 :: v_dual_sub_f32 v4, v19, v114
	v_dual_sub_f32 v19, v102, v115 :: v_dual_sub_f32 v20, v5, v120
	s_delay_alu instid0(VALU_DEP_2) | instskip(NEXT) | instid1(VALU_DEP_1)
	v_dual_add_f32 v2, v2, v120 :: v_dual_add_f32 v3, v3, v121
	v_add_f32_e32 v2, v2, v5
	v_sub_f32_e32 v5, v6, v121
	s_delay_alu instid0(VALU_DEP_3) | instskip(SKIP_1) | instid1(VALU_DEP_3)
	v_dual_add_f32 v3, v3, v6 :: v_dual_add_f32 v6, v4, v20
	v_fmamk_f32 v4, v8, 0x3f737871, v0
	v_dual_fmac_f32 v0, 0xbf737871, v8 :: v_dual_add_f32 v19, v19, v5
	v_fmamk_f32 v5, v23, 0xbf737871, v1
	v_fmac_f32_e32 v1, 0x3f737871, v23
	s_delay_alu instid0(VALU_DEP_4) | instskip(NEXT) | instid1(VALU_DEP_3)
	v_fmac_f32_e32 v4, 0x3f167918, v7
	v_dual_fmac_f32 v0, 0xbf167918, v7 :: v_dual_fmac_f32 v5, 0xbf167918, v22
	s_delay_alu instid0(VALU_DEP_3) | instskip(NEXT) | instid1(VALU_DEP_3)
	v_fmac_f32_e32 v1, 0x3f167918, v22
	v_fmac_f32_e32 v4, 0x3e9e377a, v6
	s_delay_alu instid0(VALU_DEP_3) | instskip(NEXT) | instid1(VALU_DEP_3)
	v_dual_fmac_f32 v0, 0x3e9e377a, v6 :: v_dual_fmac_f32 v5, 0x3e9e377a, v19
	v_fmac_f32_e32 v1, 0x3e9e377a, v19
	ds_store_2addr_b64 v18, v[2:3], v[4:5] offset0:4 offset1:81
	v_lshlrev_b32_e32 v18, 5, v210
	ds_store_b64 v12, v[0:1] offset:14784
	s_waitcnt lgkmcnt(0)
	s_waitcnt_vscnt null, 0x0
	s_barrier
	buffer_gl0_inv
	v_lshlrev_b32_e32 v4, 5, v211
	s_clause 0x1
	global_load_b128 v[152:155], v15, s[10:11] offset:3024
	global_load_b128 v[168:171], v15, s[10:11] offset:3040
	ds_load_2addr_b64 v[0:3], v25 offset0:2 offset1:57
	s_clause 0x1
	global_load_b128 v[172:175], v4, s[10:11] offset:3024
	global_load_b128 v[156:159], v4, s[10:11] offset:3040
	s_waitcnt vmcnt(3) lgkmcnt(0)
	v_mul_f32_e32 v5, v1, v155
	v_mul_f32_e32 v100, v0, v155
	s_waitcnt vmcnt(1)
	v_mul_f32_e32 v4, v2, v175
	s_delay_alu instid0(VALU_DEP_3) | instskip(SKIP_2) | instid1(VALU_DEP_4)
	v_fma_f32 v101, v0, v154, -v5
	v_mul_f32_e32 v0, v3, v175
	v_fmac_f32_e32 v100, v1, v154
	v_fmac_f32_e32 v4, v3, v174
	s_delay_alu instid0(VALU_DEP_3) | instskip(SKIP_4) | instid1(VALU_DEP_2)
	v_fma_f32 v5, v2, v174, -v0
	ds_load_2addr_b64 v[0:3], v10 offset0:4 offset1:59
	s_waitcnt lgkmcnt(0)
	v_mul_f32_e32 v6, v1, v171
	v_mul_f32_e32 v115, v0, v171
	v_fma_f32 v180, v0, v170, -v6
	s_waitcnt vmcnt(0)
	s_delay_alu instid0(VALU_DEP_2) | instskip(SKIP_1) | instid1(VALU_DEP_2)
	v_dual_fmac_f32 v115, v1, v170 :: v_dual_mul_f32 v0, v3, v159
	v_mul_f32_e32 v6, v2, v159
	v_fma_f32 v7, v2, v158, -v0
	s_delay_alu instid0(VALU_DEP_2)
	v_fmac_f32_e32 v6, v3, v158
	ds_load_2addr_b64 v[0:3], v24 offset0:184 offset1:239
	s_clause 0x1
	global_load_b128 v[164:167], v18, s[10:11] offset:3024
	global_load_b128 v[160:163], v18, s[10:11] offset:3040
	ds_load_2addr_b64 v[208:211], v24 offset0:74 offset1:129
	ds_load_2addr_b64 v[212:215], v16 offset0:76 offset1:131
	;; [unrolled: 1-line block ×3, first 2 shown]
	s_waitcnt lgkmcnt(3)
	v_mul_f32_e32 v8, v1, v173
	s_waitcnt lgkmcnt(2)
	v_mul_f32_e32 v20, v211, v153
	v_mul_f32_e32 v184, v210, v153
	s_waitcnt lgkmcnt(1)
	v_mul_f32_e32 v183, v214, v169
	v_fma_f32 v15, v0, v172, -v8
	v_mul_f32_e32 v8, v0, v173
	v_fma_f32 v181, v210, v152, -v20
	v_mul_f32_e32 v20, v215, v169
	v_fmac_f32_e32 v184, v211, v152
	s_waitcnt lgkmcnt(0)
	v_mul_f32_e32 v18, v176, v157
	v_fmac_f32_e32 v8, v1, v172
	v_sub_f32_e32 v103, v101, v181
	v_fma_f32 v182, v214, v168, -v20
	v_fmac_f32_e32 v183, v215, v168
	v_dual_fmac_f32 v18, v177, v156 :: v_dual_add_f32 v125, v184, v115
	s_delay_alu instid0(VALU_DEP_3)
	v_dual_sub_f32 v123, v100, v184 :: v_dual_sub_f32 v102, v101, v182
	v_sub_f32_e32 v114, v181, v180
	v_sub_f32_e32 v124, v184, v115
	v_dual_sub_f32 v126, v115, v183 :: v_dual_sub_f32 v121, v182, v180
	v_sub_f32_e32 v22, v181, v101
	s_waitcnt vmcnt(1)
	v_dual_add_f32 v23, v101, v182 :: v_dual_mul_f32 v0, v3, v165
	s_delay_alu instid0(VALU_DEP_1) | instskip(SKIP_2) | instid1(VALU_DEP_2)
	v_fma_f32 v1, v2, v164, -v0
	v_mul_f32_e32 v0, v2, v165
	v_mul_f32_e32 v2, v177, v157
	v_fmac_f32_e32 v0, v3, v164
	s_delay_alu instid0(VALU_DEP_2) | instskip(SKIP_3) | instid1(VALU_DEP_2)
	v_fma_f32 v19, v176, v156, -v2
	s_waitcnt vmcnt(0)
	v_mul_f32_e32 v2, v179, v161
	v_mul_f32_e32 v3, v178, v161
	v_fma_f32 v2, v178, v160, -v2
	s_delay_alu instid0(VALU_DEP_2) | instskip(SKIP_3) | instid1(VALU_DEP_1)
	v_fmac_f32_e32 v3, v179, v160
	ds_load_2addr_b64 v[176:179], v112 offset1:55
	s_waitcnt lgkmcnt(0)
	v_add_f32_e32 v21, v177, v184
	v_add_f32_e32 v21, v21, v100
	s_delay_alu instid0(VALU_DEP_1) | instskip(NEXT) | instid1(VALU_DEP_1)
	v_add_f32_e32 v21, v21, v183
	v_add_f32_e32 v193, v21, v115
	v_dual_sub_f32 v115, v183, v115 :: v_dual_add_f32 v20, v176, v181
	v_sub_f32_e32 v21, v184, v100
	s_delay_alu instid0(VALU_DEP_2) | instskip(SKIP_1) | instid1(VALU_DEP_2)
	v_add_f32_e32 v20, v20, v101
	v_sub_f32_e32 v101, v180, v182
	v_add_f32_e32 v20, v20, v182
	s_delay_alu instid0(VALU_DEP_2) | instskip(NEXT) | instid1(VALU_DEP_2)
	v_add_f32_e32 v22, v22, v101
	v_add_f32_e32 v192, v20, v180
	;; [unrolled: 1-line block ×3, first 2 shown]
	s_delay_alu instid0(VALU_DEP_1) | instskip(SKIP_1) | instid1(VALU_DEP_1)
	v_fma_f32 v101, -0.5, v20, v177
	v_fma_f32 v177, -0.5, v125, v177
	v_fmamk_f32 v197, v102, 0x3f737871, v177
	v_fmac_f32_e32 v177, 0xbf737871, v102
	s_delay_alu instid0(VALU_DEP_4) | instskip(SKIP_1) | instid1(VALU_DEP_4)
	v_dual_fmamk_f32 v195, v114, 0xbf737871, v101 :: v_dual_add_f32 v120, v181, v180
	v_fmac_f32_e32 v101, 0x3f737871, v114
	v_fmac_f32_e32 v197, 0xbf167918, v114
	s_delay_alu instid0(VALU_DEP_4) | instskip(NEXT) | instid1(VALU_DEP_4)
	v_fmac_f32_e32 v177, 0x3f167918, v114
	v_fmac_f32_e32 v195, 0xbf167918, v102
	v_add_f32_e32 v20, v21, v126
	v_sub_f32_e32 v122, v100, v183
	ds_load_2addr_b64 v[225:228], v112 offset0:110 offset1:165
	ds_load_2addr_b64 v[180:183], v25 offset0:112 offset1:167
	;; [unrolled: 1-line block ×3, first 2 shown]
	v_fma_f32 v100, -0.5, v23, v176
	v_fma_f32 v176, -0.5, v120, v176
	v_add_f32_e32 v23, v123, v115
	v_add_f32_e32 v21, v103, v121
	v_fmac_f32_e32 v101, 0x3f167918, v102
	v_fmamk_f32 v194, v124, 0x3f737871, v100
	v_fmac_f32_e32 v100, 0xbf737871, v124
	v_fmac_f32_e32 v177, 0x3e9e377a, v23
	;; [unrolled: 1-line block ×3, first 2 shown]
	v_fmamk_f32 v196, v122, 0xbf737871, v176
	v_fmac_f32_e32 v176, 0x3f737871, v122
	v_fmac_f32_e32 v100, 0xbf167918, v122
	;; [unrolled: 1-line block ×7, first 2 shown]
	ds_load_2addr_b64 v[188:191], v27 offset0:38 offset1:93
	ds_load_2addr_b64 v[204:207], v17 offset0:40 offset1:95
	;; [unrolled: 1-line block ×7, first 2 shown]
	v_sub_f32_e32 v123, v15, v7
	s_waitcnt lgkmcnt(7)
	v_dual_mul_f32 v23, v185, v163 :: v_dual_fmac_f32 v196, 0x3e9e377a, v21
	v_dual_fmac_f32 v176, 0x3e9e377a, v21 :: v_dual_add_f32 v21, v179, v8
	v_fmac_f32_e32 v194, 0x3f167918, v122
	s_delay_alu instid0(VALU_DEP_3) | instskip(SKIP_1) | instid1(VALU_DEP_3)
	v_fma_f32 v23, v184, v162, -v23
	v_dual_sub_f32 v122, v5, v19 :: v_dual_sub_f32 v121, v8, v6
	v_dual_add_f32 v21, v21, v4 :: v_dual_fmac_f32 v194, 0x3e9e377a, v22
	v_sub_f32_e32 v22, v18, v6
	v_add_f32_e32 v20, v178, v15
	v_add_f32_e32 v114, v1, v23
	s_delay_alu instid0(VALU_DEP_4)
	v_add_f32_e32 v21, v21, v18
	ds_store_b64 v112, v[194:195] offset:3080
	ds_store_b64 v112, v[196:197] offset:6160
	v_dual_add_f32 v20, v20, v5 :: v_dual_sub_f32 v103, v2, v23
	ds_store_b64 v112, v[176:177] offset:9240
	ds_store_b64 v112, v[100:101] offset:12320
	v_fma_f32 v176, -0.5, v114, v225
	v_mul_f32_e32 v114, v180, v167
	v_add_f32_e32 v20, v20, v19
	v_dual_mov_b32 v12, v27 :: v_dual_add_f32 v101, v21, v6
	s_delay_alu instid0(VALU_DEP_3) | instskip(NEXT) | instid1(VALU_DEP_3)
	v_dual_add_f32 v21, v15, v7 :: v_dual_fmac_f32 v114, v181, v166
	v_add_f32_e32 v100, v20, v7
	v_add_f32_e32 v20, v5, v19
	ds_load_b64 v[210:211], v112 offset:14960
	v_sub_f32_e32 v127, v1, v23
	v_sub_f32_e32 v124, v114, v3
	ds_store_2addr_b64 v112, v[192:193], v[100:101] offset1:55
	v_fma_f32 v100, -0.5, v20, v178
	v_fma_f32 v178, -0.5, v21, v178
	v_sub_f32_e32 v20, v5, v15
	v_sub_f32_e32 v21, v19, v7
	v_fmamk_f32 v247, v124, 0xbf737871, v176
	v_fmac_f32_e32 v176, 0x3f737871, v124
	v_dual_sub_f32 v5, v15, v5 :: v_dual_lshlrev_b32 v14, 5, v14
	s_delay_alu instid0(VALU_DEP_4) | instskip(SKIP_2) | instid1(VALU_DEP_2)
	v_add_f32_e32 v20, v20, v21
	v_add_f32_e32 v21, v4, v18
	v_sub_f32_e32 v7, v7, v19
	v_fma_f32 v101, -0.5, v21, v179
	v_add_f32_e32 v21, v8, v6
	s_delay_alu instid0(VALU_DEP_1) | instskip(NEXT) | instid1(VALU_DEP_1)
	v_fmac_f32_e32 v179, -0.5, v21
	v_dual_sub_f32 v21, v4, v8 :: v_dual_fmamk_f32 v246, v122, 0x3f737871, v179
	s_delay_alu instid0(VALU_DEP_1) | instskip(SKIP_1) | instid1(VALU_DEP_1)
	v_add_f32_e32 v21, v21, v22
	v_dual_mul_f32 v22, v181, v167 :: v_dual_fmac_f32 v179, 0xbf737871, v122
	v_fma_f32 v22, v180, v166, -v22
	s_delay_alu instid0(VALU_DEP_1) | instskip(NEXT) | instid1(VALU_DEP_1)
	v_dual_fmac_f32 v179, 0x3f167918, v123 :: v_dual_sub_f32 v102, v22, v1
	v_dual_sub_f32 v126, v22, v2 :: v_dual_fmac_f32 v179, 0x3e9e377a, v21
	s_delay_alu instid0(VALU_DEP_2) | instskip(SKIP_1) | instid1(VALU_DEP_1)
	v_add_f32_e32 v102, v102, v103
	v_mul_f32_e32 v103, v184, v163
	v_fmac_f32_e32 v103, v185, v162
	s_delay_alu instid0(VALU_DEP_1) | instskip(SKIP_2) | instid1(VALU_DEP_3)
	v_dual_sub_f32 v6, v6, v18 :: v_dual_add_f32 v115, v0, v103
	v_sub_f32_e32 v120, v3, v103
	v_sub_f32_e32 v125, v0, v103
	v_fma_f32 v177, -0.5, v115, v226
	s_delay_alu instid0(VALU_DEP_2) | instskip(SKIP_1) | instid1(VALU_DEP_2)
	v_dual_sub_f32 v115, v114, v0 :: v_dual_fmac_f32 v176, 0xbf167918, v125
	v_fmac_f32_e32 v247, 0x3f167918, v125
	v_dual_fmamk_f32 v248, v126, 0x3f737871, v177 :: v_dual_add_f32 v115, v115, v120
	v_sub_f32_e32 v120, v4, v18
	v_fmac_f32_e32 v177, 0xbf737871, v126
	v_fmac_f32_e32 v176, 0x3e9e377a, v102
	v_sub_f32_e32 v4, v8, v4
	s_delay_alu instid0(VALU_DEP_4) | instskip(SKIP_2) | instid1(VALU_DEP_3)
	v_fmamk_f32 v245, v120, 0xbf737871, v178
	v_fmac_f32_e32 v178, 0x3f737871, v120
	v_fmac_f32_e32 v177, 0x3f167918, v127
	;; [unrolled: 1-line block ×3, first 2 shown]
	s_delay_alu instid0(VALU_DEP_3) | instskip(NEXT) | instid1(VALU_DEP_3)
	v_fmac_f32_e32 v178, 0xbf167918, v121
	v_fmac_f32_e32 v177, 0x3e9e377a, v115
	s_delay_alu instid0(VALU_DEP_3) | instskip(NEXT) | instid1(VALU_DEP_3)
	v_fmac_f32_e32 v245, 0x3e9e377a, v20
	v_fmac_f32_e32 v178, 0x3e9e377a, v20
	ds_store_2addr_b64 v16, v[178:179], v[176:177] offset0:186 offset1:241
	v_lshlrev_b32_e32 v176, 5, v223
	s_clause 0x1
	global_load_b128 v[192:195], v176, s[10:11] offset:3024
	global_load_b128 v[200:203], v176, s[10:11] offset:3040
	s_waitcnt vmcnt(1)
	v_mul_f32_e32 v176, v183, v195
	s_waitcnt vmcnt(0)
	v_mul_f32_e32 v221, v186, v203
	v_mul_f32_e32 v219, v182, v195
	s_waitcnt lgkmcnt(13)
	v_mul_f32_e32 v177, v189, v193
	s_waitcnt lgkmcnt(12)
	v_mul_f32_e32 v252, v204, v201
	v_fma_f32 v218, v182, v194, -v176
	v_mul_f32_e32 v176, v187, v203
	v_fmac_f32_e32 v221, v187, v202
	v_fmac_f32_e32 v219, v183, v194
	v_fma_f32 v223, v188, v192, -v177
	v_add_f32_e32 v8, v5, v7
	v_fma_f32 v220, v186, v202, -v176
	v_lshlrev_b32_e32 v176, 5, v224
	s_clause 0x1
	global_load_b128 v[196:199], v176, s[10:11] offset:3024
	global_load_b128 v[184:187], v176, s[10:11] offset:3040
	v_dual_mul_f32 v224, v188, v193 :: v_dual_sub_f32 v7, v103, v3
	v_dual_add_f32 v15, v4, v6 :: v_dual_fmac_f32 v252, v205, v200
	s_delay_alu instid0(VALU_DEP_2) | instskip(SKIP_4) | instid1(VALU_DEP_3)
	v_dual_sub_f32 v5, v23, v2 :: v_dual_fmac_f32 v224, v189, v192
	v_sub_f32_e32 v6, v0, v114
	v_sub_f32_e32 v4, v1, v22
	v_dual_add_f32 v1, v225, v1 :: v_dual_add_f32 v0, v226, v0
	v_fmac_f32_e32 v247, 0x3e9e377a, v102
	v_dual_add_f32 v19, v6, v7 :: v_dual_add_f32 v18, v4, v5
	v_add_f32_e32 v5, v114, v3
	v_dual_fmamk_f32 v7, v123, 0xbf737871, v101 :: v_dual_add_f32 v4, v22, v2
	v_dual_fmamk_f32 v6, v121, 0x3f737871, v100 :: v_dual_fmac_f32 v101, 0x3f737871, v123
	s_delay_alu instid0(VALU_DEP_3)
	v_fma_f32 v5, -0.5, v5, v226
	v_add_f32_e32 v1, v1, v22
	v_add_f32_e32 v0, v0, v114
	v_fma_f32 v4, -0.5, v4, v225
	v_fmac_f32_e32 v101, 0x3f167918, v122
	v_fmac_f32_e32 v7, 0xbf167918, v122
	s_delay_alu instid0(VALU_DEP_4) | instskip(SKIP_1) | instid1(VALU_DEP_4)
	v_dual_add_f32 v1, v1, v2 :: v_dual_add_f32 v2, v0, v3
	v_fmac_f32_e32 v6, 0x3f167918, v120
	v_fmac_f32_e32 v101, 0x3e9e377a, v15
	s_delay_alu instid0(VALU_DEP_4) | instskip(NEXT) | instid1(VALU_DEP_4)
	v_fmac_f32_e32 v7, 0x3e9e377a, v15
	v_add_f32_e32 v0, v1, v23
	s_waitcnt vmcnt(1)
	v_dual_add_f32 v1, v2, v103 :: v_dual_mul_f32 v176, v191, v197
	v_mul_f32_e32 v250, v190, v197
	s_waitcnt vmcnt(0)
	v_mul_f32_e32 v254, v206, v185
	s_delay_alu instid0(VALU_DEP_3) | instskip(NEXT) | instid1(VALU_DEP_3)
	v_fma_f32 v249, v190, v196, -v176
	v_fmac_f32_e32 v250, v191, v196
	s_clause 0x1
	global_load_b128 v[188:191], v14, s[10:11] offset:3024
	global_load_b128 v[180:183], v14, s[10:11] offset:3040
	v_mul_f32_e32 v176, v205, v201
	v_fmac_f32_e32 v254, v207, v184
	s_delay_alu instid0(VALU_DEP_2) | instskip(NEXT) | instid1(VALU_DEP_1)
	v_fma_f32 v251, v204, v200, -v176
	v_dual_mul_f32 v176, v207, v185 :: v_dual_sub_f32 v15, v220, v251
	s_delay_alu instid0(VALU_DEP_1) | instskip(SKIP_2) | instid1(VALU_DEP_1)
	v_fma_f32 v253, v206, v184, -v176
	s_waitcnt lgkmcnt(10)
	v_mul_f32_e32 v176, v230, v199
	v_fma_f32 v255, v229, v198, -v176
	s_clause 0x1
	global_load_b128 v[204:207], v13, s[10:11] offset:3024
	global_load_b128 v[176:179], v13, s[10:11] offset:3040
	v_mul_f32_e32 v229, v229, v199
	s_delay_alu instid0(VALU_DEP_1) | instskip(NEXT) | instid1(VALU_DEP_1)
	v_dual_fmac_f32 v246, 0xbf167918, v123 :: v_dual_fmac_f32 v229, v230, v198
	v_fmac_f32_e32 v246, 0x3e9e377a, v21
	s_waitcnt vmcnt(3)
	v_mul_f32_e32 v14, v232, v191
	s_delay_alu instid0(VALU_DEP_1) | instskip(SKIP_3) | instid1(VALU_DEP_2)
	v_fma_f32 v230, v231, v190, -v14
	v_mul_f32_e32 v231, v231, v191
	s_waitcnt lgkmcnt(9)
	v_mul_f32_e32 v14, v234, v187
	v_dual_fmac_f32 v248, 0xbf167918, v127 :: v_dual_fmac_f32 v231, v232, v190
	s_delay_alu instid0(VALU_DEP_2) | instskip(SKIP_2) | instid1(VALU_DEP_1)
	v_fma_f32 v232, v233, v186, -v14
	v_mul_f32_e32 v233, v233, v187
	s_waitcnt vmcnt(2)
	v_dual_mul_f32 v14, v236, v183 :: v_dual_fmac_f32 v233, v234, v186
	s_delay_alu instid0(VALU_DEP_1) | instskip(SKIP_4) | instid1(VALU_DEP_2)
	v_fma_f32 v234, v235, v182, -v14
	s_waitcnt lgkmcnt(8)
	v_dual_mul_f32 v235, v235, v183 :: v_dual_mul_f32 v14, v238, v189
	s_waitcnt vmcnt(1)
	v_mul_f32_e32 v13, v240, v205
	v_fmac_f32_e32 v235, v236, v182
	s_delay_alu instid0(VALU_DEP_3) | instskip(SKIP_3) | instid1(VALU_DEP_3)
	v_fma_f32 v236, v237, v188, -v14
	v_dual_mul_f32 v237, v237, v189 :: v_dual_fmamk_f32 v14, v127, 0xbf737871, v5
	v_fmac_f32_e32 v5, 0x3f737871, v127
	v_dual_fmac_f32 v248, 0x3e9e377a, v115 :: v_dual_add_f32 v3, v228, v224
	v_fmac_f32_e32 v237, v238, v188
	v_fma_f32 v238, v239, v204, -v13
	v_mul_f32_e32 v239, v239, v205
	v_dual_mul_f32 v13, v213, v207 :: v_dual_fmac_f32 v100, 0xbf737871, v121
	v_add_f32_e32 v3, v3, v219
	v_fmac_f32_e32 v5, 0x3f167918, v126
	s_delay_alu instid0(VALU_DEP_4) | instskip(NEXT) | instid1(VALU_DEP_4)
	v_fmac_f32_e32 v239, v240, v204
	v_fma_f32 v240, v212, v206, -v13
	s_waitcnt lgkmcnt(7)
	v_dual_mul_f32 v212, v212, v207 :: v_dual_mul_f32 v13, v242, v181
	v_add_f32_e32 v3, v3, v252
	v_fmac_f32_e32 v100, 0xbf167918, v120
	v_fmac_f32_e32 v14, 0xbf167918, v126
	s_delay_alu instid0(VALU_DEP_4)
	v_fmac_f32_e32 v212, v213, v206
	v_fma_f32 v213, v241, v180, -v13
	v_mul_f32_e32 v241, v241, v181
	s_waitcnt vmcnt(0)
	v_mul_f32_e32 v13, v244, v177
	v_fmac_f32_e32 v5, 0x3e9e377a, v19
	v_add_f32_e32 v2, v227, v223
	v_add_f32_e32 v3, v3, v221
	v_fmac_f32_e32 v241, v242, v180
	v_fma_f32 v242, v243, v176, -v13
	v_fmamk_f32 v13, v125, 0x3f737871, v4
	v_fmac_f32_e32 v4, 0xbf737871, v125
	v_fmac_f32_e32 v100, 0x3e9e377a, v8
	;; [unrolled: 1-line block ×3, first 2 shown]
	ds_store_2addr_b64 v25, v[245:246], v[247:248] offset0:57 offset1:112
	v_fmac_f32_e32 v13, 0x3f167918, v124
	v_fmac_f32_e32 v4, 0xbf167918, v124
	;; [unrolled: 1-line block ×3, first 2 shown]
	v_sub_f32_e32 v19, v221, v252
	v_mul_f32_e32 v243, v243, v177
	v_fmac_f32_e32 v13, 0x3e9e377a, v18
	s_delay_alu instid0(VALU_DEP_2)
	v_dual_fmac_f32 v4, 0x3e9e377a, v18 :: v_dual_fmac_f32 v243, v244, v176
	ds_store_2addr_b64 v24, v[6:7], v[13:14] offset0:184 offset1:239
	ds_store_2addr_b64 v10, v[100:101], v[4:5] offset0:59 offset1:114
	v_dual_sub_f32 v5, v224, v221 :: v_dual_add_f32 v2, v2, v218
	v_dual_sub_f32 v4, v252, v221 :: v_dual_sub_f32 v7, v219, v252
	v_sub_f32_e32 v14, v223, v220
	v_sub_f32_e32 v8, v218, v251
	s_delay_alu instid0(VALU_DEP_4) | instskip(SKIP_1) | instid1(VALU_DEP_2)
	v_add_f32_e32 v2, v2, v251
	v_dual_sub_f32 v18, v224, v219 :: v_dual_sub_f32 v13, v223, v218
	v_add_f32_e32 v2, v2, v220
	ds_store_2addr_b64 v112, v[0:1], v[2:3] offset0:110 offset1:165
	v_add_f32_e32 v1, v223, v220
	v_sub_f32_e32 v2, v251, v220
	v_add_f32_e32 v0, v218, v251
	s_delay_alu instid0(VALU_DEP_1) | instskip(NEXT) | instid1(VALU_DEP_4)
	v_fma_f32 v0, -0.5, v0, v227
	v_fma_f32 v227, -0.5, v1, v227
	v_sub_f32_e32 v1, v218, v223
	s_delay_alu instid0(VALU_DEP_1) | instskip(SKIP_1) | instid1(VALU_DEP_1)
	v_add_f32_e32 v3, v1, v2
	v_dual_add_f32 v1, v219, v252 :: v_dual_add_f32 v2, v224, v221
	v_fma_f32 v1, -0.5, v1, v228
	s_delay_alu instid0(VALU_DEP_2) | instskip(SKIP_1) | instid1(VALU_DEP_1)
	v_fmac_f32_e32 v228, -0.5, v2
	v_sub_f32_e32 v2, v219, v224
	v_add_f32_e32 v6, v2, v4
	v_fmamk_f32 v2, v7, 0xbf737871, v227
	v_dual_fmac_f32 v227, 0x3f737871, v7 :: v_dual_fmamk_f32 v4, v5, 0x3f737871, v0
	v_fmac_f32_e32 v0, 0xbf737871, v5
	s_delay_alu instid0(VALU_DEP_3) | instskip(NEXT) | instid1(VALU_DEP_3)
	v_fmac_f32_e32 v2, 0x3f167918, v5
	v_fmac_f32_e32 v227, 0xbf167918, v5
	v_fmamk_f32 v5, v14, 0xbf737871, v1
	v_fmac_f32_e32 v1, 0x3f737871, v14
	v_fmac_f32_e32 v4, 0x3f167918, v7
	v_fmac_f32_e32 v2, 0x3e9e377a, v3
	v_fmac_f32_e32 v227, 0x3e9e377a, v3
	v_fmamk_f32 v3, v8, 0x3f737871, v228
	s_delay_alu instid0(VALU_DEP_1) | instskip(SKIP_3) | instid1(VALU_DEP_4)
	v_fmac_f32_e32 v3, 0xbf167918, v14
	v_fmac_f32_e32 v228, 0xbf737871, v8
	v_dual_fmac_f32 v0, 0xbf167918, v7 :: v_dual_fmac_f32 v5, 0xbf167918, v8
	v_fmac_f32_e32 v1, 0x3f167918, v8
	v_fmac_f32_e32 v3, 0x3e9e377a, v6
	s_delay_alu instid0(VALU_DEP_4) | instskip(SKIP_2) | instid1(VALU_DEP_3)
	v_fmac_f32_e32 v228, 0x3f167918, v14
	v_sub_f32_e32 v14, v249, v232
	v_sub_f32_e32 v8, v250, v233
	v_fmac_f32_e32 v228, 0x3e9e377a, v6
	v_add_f32_e32 v6, v13, v15
	v_add_f32_e32 v13, v18, v19
	v_sub_f32_e32 v15, v255, v253
	s_delay_alu instid0(VALU_DEP_3) | instskip(NEXT) | instid1(VALU_DEP_3)
	v_dual_sub_f32 v19, v254, v233 :: v_dual_fmac_f32 v0, 0x3e9e377a, v6
	v_fmac_f32_e32 v1, 0x3e9e377a, v13
	v_fmac_f32_e32 v5, 0x3e9e377a, v13
	ds_store_b64 v112, v[227:228] offset:10560
	ds_store_b64 v112, v[2:3] offset:7480
	;; [unrolled: 1-line block ×3, first 2 shown]
	v_dual_sub_f32 v0, v249, v255 :: v_dual_sub_f32 v1, v232, v253
	v_dual_sub_f32 v2, v250, v229 :: v_dual_sub_f32 v3, v233, v254
	v_sub_f32_e32 v13, v229, v254
	s_delay_alu instid0(VALU_DEP_2) | instskip(NEXT) | instid1(VALU_DEP_4)
	v_dual_add_f32 v7, v2, v3 :: v_dual_fmac_f32 v4, 0x3e9e377a, v6
	v_dual_add_f32 v6, v0, v1 :: v_dual_add_f32 v1, v229, v254
	s_delay_alu instid0(VALU_DEP_1) | instskip(NEXT) | instid1(VALU_DEP_1)
	v_fma_f32 v1, -0.5, v1, v215
	v_dual_fmamk_f32 v3, v14, 0xbf737871, v1 :: v_dual_add_f32 v0, v255, v253
	s_delay_alu instid0(VALU_DEP_1) | instskip(NEXT) | instid1(VALU_DEP_2)
	v_fmac_f32_e32 v3, 0xbf167918, v15
	v_fma_f32 v0, -0.5, v0, v214
	s_delay_alu instid0(VALU_DEP_2) | instskip(NEXT) | instid1(VALU_DEP_2)
	v_fmac_f32_e32 v3, 0x3e9e377a, v7
	v_fmamk_f32 v2, v8, 0x3f737871, v0
	s_delay_alu instid0(VALU_DEP_1) | instskip(NEXT) | instid1(VALU_DEP_1)
	v_fmac_f32_e32 v2, 0x3f167918, v13
	v_fmac_f32_e32 v2, 0x3e9e377a, v6
	ds_store_2addr_b64 v27, v[4:5], v[2:3] offset0:38 offset1:93
	v_add_f32_e32 v5, v217, v237
	v_add_f32_e32 v3, v215, v250
	s_delay_alu instid0(VALU_DEP_2) | instskip(NEXT) | instid1(VALU_DEP_2)
	v_add_f32_e32 v5, v5, v231
	v_dual_add_f32 v3, v3, v229 :: v_dual_add_f32 v4, v216, v236
	s_delay_alu instid0(VALU_DEP_2) | instskip(NEXT) | instid1(VALU_DEP_2)
	v_add_f32_e32 v5, v5, v241
	v_dual_add_f32 v2, v214, v249 :: v_dual_add_f32 v3, v3, v254
	s_delay_alu instid0(VALU_DEP_3) | instskip(NEXT) | instid1(VALU_DEP_3)
	v_add_f32_e32 v4, v4, v230
	v_dual_fmac_f32 v0, 0xbf737871, v8 :: v_dual_add_f32 v5, v5, v235
	s_delay_alu instid0(VALU_DEP_3) | instskip(NEXT) | instid1(VALU_DEP_3)
	v_dual_add_f32 v2, v2, v255 :: v_dual_add_f32 v3, v3, v233
	v_dual_add_f32 v4, v4, v213 :: v_dual_fmac_f32 v1, 0x3f737871, v14
	s_delay_alu instid0(VALU_DEP_2) | instskip(NEXT) | instid1(VALU_DEP_2)
	v_add_f32_e32 v2, v2, v253
	v_dual_add_f32 v4, v4, v234 :: v_dual_fmac_f32 v1, 0x3f167918, v15
	v_sub_f32_e32 v18, v229, v250
	s_delay_alu instid0(VALU_DEP_2) | instskip(SKIP_3) | instid1(VALU_DEP_2)
	v_dual_add_f32 v2, v2, v232 :: v_dual_fmac_f32 v1, 0x3e9e377a, v7
	ds_store_2addr_b64 v28, v[2:3], v[4:5] offset0:92 offset1:147
	v_dual_add_f32 v2, v249, v232 :: v_dual_add_f32 v3, v250, v233
	v_sub_f32_e32 v5, v253, v232
	v_fma_f32 v2, -0.5, v2, v214
	s_delay_alu instid0(VALU_DEP_3) | instskip(SKIP_1) | instid1(VALU_DEP_1)
	v_fma_f32 v3, -0.5, v3, v215
	v_sub_f32_e32 v4, v255, v249
	v_add_f32_e32 v20, v4, v5
	s_delay_alu instid0(VALU_DEP_4) | instskip(NEXT) | instid1(VALU_DEP_4)
	v_fmamk_f32 v4, v13, 0xbf737871, v2
	v_dual_fmac_f32 v2, 0x3f737871, v13 :: v_dual_fmamk_f32 v5, v15, 0x3f737871, v3
	v_fmac_f32_e32 v3, 0xbf737871, v15
	v_dual_fmac_f32 v0, 0xbf167918, v13 :: v_dual_add_f32 v13, v18, v19
	s_delay_alu instid0(VALU_DEP_3) | instskip(NEXT) | instid1(VALU_DEP_3)
	v_dual_fmac_f32 v2, 0xbf167918, v8 :: v_dual_fmac_f32 v5, 0xbf167918, v14
	v_fmac_f32_e32 v3, 0x3f167918, v14
	s_delay_alu instid0(VALU_DEP_3) | instskip(SKIP_1) | instid1(VALU_DEP_4)
	v_fmac_f32_e32 v0, 0x3e9e377a, v6
	v_dual_sub_f32 v14, v230, v213 :: v_dual_sub_f32 v15, v236, v234
	v_dual_fmac_f32 v2, 0x3e9e377a, v20 :: v_dual_fmac_f32 v5, 0x3e9e377a, v13
	s_delay_alu instid0(VALU_DEP_4)
	v_fmac_f32_e32 v3, 0x3e9e377a, v13
	ds_store_b64 v112, v[2:3] offset:11000
	ds_store_b64 v112, v[0:1] offset:14080
	v_dual_add_f32 v0, v230, v213 :: v_dual_sub_f32 v13, v237, v235
	v_add_f32_e32 v1, v236, v234
	v_sub_f32_e32 v2, v213, v234
	v_sub_f32_e32 v3, v241, v235
	s_delay_alu instid0(VALU_DEP_4) | instskip(NEXT) | instid1(VALU_DEP_4)
	v_fma_f32 v0, -0.5, v0, v216
	v_fma_f32 v216, -0.5, v1, v216
	v_sub_f32_e32 v1, v230, v236
	s_waitcnt lgkmcnt(13)
	s_delay_alu instid0(VALU_DEP_1) | instskip(SKIP_1) | instid1(VALU_DEP_2)
	v_dual_mul_f32 v19, v210, v179 :: v_dual_add_f32 v6, v1, v2
	v_dual_add_f32 v1, v231, v241 :: v_dual_add_f32 v2, v237, v235
	v_dual_fmac_f32 v19, v211, v178 :: v_dual_fmac_f32 v4, 0x3f167918, v8
	s_delay_alu instid0(VALU_DEP_2) | instskip(NEXT) | instid1(VALU_DEP_3)
	v_fma_f32 v1, -0.5, v1, v217
	v_dual_fmac_f32 v217, -0.5, v2 :: v_dual_sub_f32 v2, v231, v237
	v_sub_f32_e32 v8, v231, v241
	s_delay_alu instid0(VALU_DEP_2) | instskip(NEXT) | instid1(VALU_DEP_3)
	v_dual_fmac_f32 v4, 0x3e9e377a, v20 :: v_dual_add_f32 v7, v2, v3
	v_fmamk_f32 v3, v14, 0x3f737871, v217
	s_delay_alu instid0(VALU_DEP_3) | instskip(SKIP_1) | instid1(VALU_DEP_3)
	v_dual_fmac_f32 v217, 0xbf737871, v14 :: v_dual_fmamk_f32 v2, v8, 0xbf737871, v216
	v_fmac_f32_e32 v216, 0x3f737871, v8
	v_fmac_f32_e32 v3, 0xbf167918, v15
	s_delay_alu instid0(VALU_DEP_3) | instskip(NEXT) | instid1(VALU_DEP_3)
	v_dual_fmac_f32 v217, 0x3f167918, v15 :: v_dual_fmac_f32 v2, 0x3f167918, v13
	v_fmac_f32_e32 v216, 0xbf167918, v13
	s_delay_alu instid0(VALU_DEP_3) | instskip(NEXT) | instid1(VALU_DEP_3)
	v_fmac_f32_e32 v3, 0x3e9e377a, v7
	v_dual_fmac_f32 v217, 0x3e9e377a, v7 :: v_dual_fmac_f32 v2, 0x3e9e377a, v6
	v_sub_f32_e32 v7, v235, v241
	ds_store_2addr_b64 v11, v[4:5], v[2:3] offset0:94 offset1:149
	v_dual_sub_f32 v4, v236, v230 :: v_dual_fmamk_f32 v3, v15, 0xbf737871, v1
	v_dual_sub_f32 v5, v234, v213 :: v_dual_mul_f32 v2, v211, v179
	v_fmac_f32_e32 v1, 0x3f737871, v15
	v_sub_f32_e32 v15, v240, v242
	s_delay_alu instid0(VALU_DEP_4) | instskip(NEXT) | instid1(VALU_DEP_4)
	v_fmac_f32_e32 v3, 0xbf167918, v14
	v_fma_f32 v18, v210, v178, -v2
	v_fmamk_f32 v2, v13, 0x3f737871, v0
	v_fmac_f32_e32 v0, 0xbf737871, v13
	v_add_f32_e32 v13, v4, v5
	v_dual_add_f32 v5, v209, v239 :: v_dual_fmac_f32 v216, 0x3e9e377a, v6
	v_dual_sub_f32 v6, v237, v231 :: v_dual_fmac_f32 v1, 0x3f167918, v14
	s_delay_alu instid0(VALU_DEP_2) | instskip(SKIP_1) | instid1(VALU_DEP_3)
	v_dual_sub_f32 v14, v238, v18 :: v_dual_add_f32 v5, v5, v212
	v_add_f32_e32 v4, v208, v238
	v_add_f32_e32 v6, v6, v7
	v_fmac_f32_e32 v0, 0xbf167918, v8
	s_delay_alu instid0(VALU_DEP_4) | instskip(NEXT) | instid1(VALU_DEP_3)
	v_dual_fmac_f32 v2, 0x3f167918, v8 :: v_dual_add_f32 v5, v5, v243
	v_dual_add_f32 v4, v4, v240 :: v_dual_fmac_f32 v1, 0x3e9e377a, v6
	s_delay_alu instid0(VALU_DEP_3) | instskip(NEXT) | instid1(VALU_DEP_2)
	v_dual_fmac_f32 v0, 0x3e9e377a, v13 :: v_dual_fmac_f32 v3, 0x3e9e377a, v6
	v_dual_add_f32 v5, v5, v19 :: v_dual_add_f32 v4, v4, v242
	v_sub_f32_e32 v8, v239, v19
	s_delay_alu instid0(VALU_DEP_2)
	v_add_f32_e32 v4, v4, v18
	ds_store_b64 v112, v[216:217] offset:11440
	ds_store_b64 v112, v[0:1] offset:14520
	;; [unrolled: 1-line block ×3, first 2 shown]
	v_sub_f32_e32 v0, v238, v240
	v_dual_sub_f32 v1, v18, v242 :: v_dual_sub_f32 v4, v239, v212
	s_delay_alu instid0(VALU_DEP_1) | instskip(SKIP_1) | instid1(VALU_DEP_2)
	v_dual_sub_f32 v5, v19, v243 :: v_dual_add_f32 v6, v0, v1
	v_add_f32_e32 v1, v212, v243
	v_add_f32_e32 v7, v4, v5
	v_dual_fmac_f32 v2, 0x3e9e377a, v13 :: v_dual_sub_f32 v13, v212, v243
	s_delay_alu instid0(VALU_DEP_3) | instskip(NEXT) | instid1(VALU_DEP_1)
	v_fma_f32 v1, -0.5, v1, v209
	v_fmamk_f32 v5, v14, 0xbf737871, v1
	s_delay_alu instid0(VALU_DEP_1) | instskip(NEXT) | instid1(VALU_DEP_1)
	v_dual_fmac_f32 v5, 0xbf167918, v15 :: v_dual_add_f32 v0, v240, v242
	v_fmac_f32_e32 v5, 0x3e9e377a, v7
	s_delay_alu instid0(VALU_DEP_2) | instskip(NEXT) | instid1(VALU_DEP_1)
	v_fma_f32 v0, -0.5, v0, v208
	v_fmamk_f32 v4, v8, 0x3f737871, v0
	v_fmac_f32_e32 v0, 0xbf737871, v8
	s_delay_alu instid0(VALU_DEP_2) | instskip(NEXT) | instid1(VALU_DEP_2)
	v_fmac_f32_e32 v4, 0x3f167918, v13
	v_fmac_f32_e32 v0, 0xbf167918, v13
	s_delay_alu instid0(VALU_DEP_2)
	v_fmac_f32_e32 v4, 0x3e9e377a, v6
	ds_store_2addr_b64 v27, v[2:3], v[4:5] offset0:148 offset1:203
	v_add_f32_e32 v3, v238, v18
	v_sub_f32_e32 v4, v242, v18
	v_add_f32_e32 v18, v239, v19
	v_sub_f32_e32 v19, v243, v19
	v_fmac_f32_e32 v1, 0x3f737871, v14
	v_fma_f32 v208, -0.5, v3, v208
	v_sub_f32_e32 v5, v212, v239
	v_fmac_f32_e32 v209, -0.5, v18
	s_delay_alu instid0(VALU_DEP_4) | instskip(NEXT) | instid1(VALU_DEP_3)
	v_dual_sub_f32 v2, v240, v238 :: v_dual_fmac_f32 v1, 0x3f167918, v15
	v_dual_fmac_f32 v0, 0x3e9e377a, v6 :: v_dual_add_f32 v5, v5, v19
	s_delay_alu instid0(VALU_DEP_3) | instskip(SKIP_1) | instid1(VALU_DEP_4)
	v_fmamk_f32 v3, v15, 0x3f737871, v209
	v_fmac_f32_e32 v209, 0xbf737871, v15
	v_dual_fmac_f32 v1, 0x3e9e377a, v7 :: v_dual_add_f32 v4, v2, v4
	v_fmamk_f32 v2, v13, 0xbf737871, v208
	v_fmac_f32_e32 v208, 0x3f737871, v13
	s_delay_alu instid0(VALU_DEP_4) | instskip(SKIP_1) | instid1(VALU_DEP_4)
	v_fmac_f32_e32 v209, 0x3f167918, v14
	v_fmac_f32_e32 v3, 0xbf167918, v14
	;; [unrolled: 1-line block ×3, first 2 shown]
	s_delay_alu instid0(VALU_DEP_4) | instskip(NEXT) | instid1(VALU_DEP_4)
	v_fmac_f32_e32 v208, 0xbf167918, v8
	v_fmac_f32_e32 v209, 0x3e9e377a, v5
	s_delay_alu instid0(VALU_DEP_3) | instskip(NEXT) | instid1(VALU_DEP_3)
	v_dual_fmac_f32 v3, 0x3e9e377a, v5 :: v_dual_fmac_f32 v2, 0x3e9e377a, v4
	v_fmac_f32_e32 v208, 0x3e9e377a, v4
	ds_store_b64 v112, v[208:209] offset:11880
	ds_store_b64 v112, v[2:3] offset:8800
	;; [unrolled: 1-line block ×3, first 2 shown]
	v_lshlrev_b32_e32 v0, 3, v9
	s_waitcnt lgkmcnt(0)
	s_barrier
	buffer_gl0_inv
	v_mov_b32_e32 v9, v10
	v_add_co_u32 v2, s0, s8, v0
	s_delay_alu instid0(VALU_DEP_1) | instskip(NEXT) | instid1(VALU_DEP_2)
	v_add_co_ci_u32_e64 v3, null, s9, 0, s0
	v_add_co_u32 v0, s0, 0x3000, v2
	s_delay_alu instid0(VALU_DEP_1) | instskip(SKIP_1) | instid1(VALU_DEP_1)
	v_add_co_ci_u32_e64 v1, s0, 0, v3, s0
	v_add_co_u32 v4, s0, 0x4000, v2
	v_add_co_ci_u32_e64 v5, s0, 0, v3, s0
	global_load_b64 v[0:1], v[0:1], off offset:3112
	v_add_co_u32 v13, s0, 0x3c28, v2
	s_delay_alu instid0(VALU_DEP_1)
	v_add_co_ci_u32_e64 v14, s0, 0, v3, s0
	s_clause 0x2
	global_load_b64 v[18:19], v[4:5], off offset:3416
	global_load_b64 v[100:101], v[4:5], off offset:3856
	;; [unrolled: 1-line block ×3, first 2 shown]
	ds_load_2addr_b64 v[4:7], v112 offset1:55
	s_waitcnt vmcnt(3) lgkmcnt(0)
	v_mul_f32_e32 v8, v5, v1
	v_mul_f32_e32 v211, v4, v1
	s_delay_alu instid0(VALU_DEP_2) | instskip(NEXT) | instid1(VALU_DEP_2)
	v_fma_f32 v210, v4, v0, -v8
	v_fmac_f32_e32 v211, v5, v0
	s_clause 0x3
	global_load_b64 v[0:1], v[13:14], off offset:440
	global_load_b64 v[212:213], v[13:14], off offset:880
	;; [unrolled: 1-line block ×4, first 2 shown]
	ds_store_b64 v112, v[210:211]
	s_waitcnt vmcnt(3)
	v_mul_f32_e32 v4, v7, v1
	v_mul_f32_e32 v224, v6, v1
	s_delay_alu instid0(VALU_DEP_2) | instskip(NEXT) | instid1(VALU_DEP_2)
	v_fma_f32 v223, v6, v0, -v4
	v_fmac_f32_e32 v224, v7, v0
	ds_load_2addr_b64 v[4:7], v27 offset0:38 offset1:93
	s_waitcnt lgkmcnt(0)
	v_mul_f32_e32 v0, v5, v19
	v_mul_f32_e32 v211, v4, v19
	;; [unrolled: 1-line block ×3, first 2 shown]
	s_delay_alu instid0(VALU_DEP_3) | instskip(NEXT) | instid1(VALU_DEP_3)
	v_fma_f32 v210, v4, v18, -v0
	v_dual_mul_f32 v0, v7, v101 :: v_dual_fmac_f32 v211, v5, v18
	s_delay_alu instid0(VALU_DEP_3) | instskip(NEXT) | instid1(VALU_DEP_2)
	v_fmac_f32_e32 v19, v7, v100
	v_fma_f32 v18, v6, v100, -v0
	v_add_co_u32 v100, s0, 0x5000, v2
	s_delay_alu instid0(VALU_DEP_1) | instskip(SKIP_1) | instid1(VALU_DEP_1)
	v_add_co_ci_u32_e64 v101, s0, 0, v3, s0
	v_add_co_u32 v225, s0, 0x6000, v2
	v_add_co_ci_u32_e64 v226, s0, 0, v3, s0
	s_clause 0x3
	global_load_b64 v[0:1], v[100:101], off offset:3720
	global_load_b64 v[227:228], v[225:226], off offset:64
	;; [unrolled: 1-line block ×4, first 2 shown]
	ds_load_2addr_b64 v[4:7], v16 offset0:76 offset1:131
	s_waitcnt vmcnt(3) lgkmcnt(0)
	v_mul_f32_e32 v8, v5, v1
	v_mul_f32_e32 v234, v4, v1
	s_delay_alu instid0(VALU_DEP_2) | instskip(NEXT) | instid1(VALU_DEP_2)
	v_fma_f32 v233, v4, v0, -v8
	v_fmac_f32_e32 v234, v5, v0
	s_waitcnt vmcnt(2)
	v_mul_f32_e32 v0, v7, v228
	v_mul_f32_e32 v5, v6, v228
	s_delay_alu instid0(VALU_DEP_2) | instskip(SKIP_1) | instid1(VALU_DEP_3)
	v_fma_f32 v4, v6, v227, -v0
	v_add_co_u32 v6, s0, 0x7000, v2
	v_fmac_f32_e32 v5, v7, v227
	v_add_co_ci_u32_e64 v7, s0, 0, v3, s0
	s_clause 0x2
	global_load_b64 v[227:228], v[225:226], off offset:4024
	global_load_b64 v[235:236], v[6:7], off offset:368
	global_load_b64 v[237:238], v[225:226], off offset:3584
	ds_load_2addr_b64 v[0:3], v10 offset0:114 offset1:169
	s_waitcnt vmcnt(2) lgkmcnt(0)
	v_mul_f32_e32 v8, v1, v228
	v_mul_f32_e32 v240, v0, v228
	s_waitcnt vmcnt(1)
	v_mul_f32_e32 v228, v2, v236
	s_delay_alu instid0(VALU_DEP_3) | instskip(SKIP_2) | instid1(VALU_DEP_4)
	v_fma_f32 v239, v0, v227, -v8
	v_mul_f32_e32 v0, v3, v236
	v_fmac_f32_e32 v240, v1, v227
	v_fmac_f32_e32 v228, v3, v235
	s_delay_alu instid0(VALU_DEP_3)
	v_fma_f32 v227, v2, v235, -v0
	s_clause 0x3
	global_load_b64 v[235:236], v[13:14], off offset:2640
	global_load_b64 v[241:242], v[13:14], off offset:3080
	global_load_b64 v[243:244], v[13:14], off offset:3520
	global_load_b64 v[13:14], v[13:14], off offset:2200
	ds_load_2addr_b64 v[0:3], v24 offset0:74 offset1:129
	s_waitcnt vmcnt(3) lgkmcnt(0)
	v_mul_f32_e32 v8, v1, v236
	v_mul_f32_e32 v246, v0, v236
	s_waitcnt vmcnt(2)
	v_mul_f32_e32 v236, v2, v242
	s_delay_alu instid0(VALU_DEP_3) | instskip(SKIP_2) | instid1(VALU_DEP_4)
	v_fma_f32 v245, v0, v235, -v8
	v_mul_f32_e32 v0, v3, v242
	v_fmac_f32_e32 v246, v1, v235
	v_fmac_f32_e32 v236, v3, v241
	s_delay_alu instid0(VALU_DEP_3)
	v_fma_f32 v235, v2, v241, -v0
	s_clause 0x3
	global_load_b64 v[241:242], v[100:101], off offset:1960
	;; [unrolled: 18-line block ×3, first 2 shown]
	global_load_b64 v[218:219], v[225:226], off offset:2704
	global_load_b64 v[220:221], v[225:226], off offset:1824
	ds_load_2addr_b64 v[0:3], v17 offset0:150 offset1:205
	s_waitcnt vmcnt(2) lgkmcnt(0)
	v_mul_f32_e32 v8, v1, v248
	s_waitcnt vmcnt(1)
	v_dual_mul_f32 v115, v0, v248 :: v_dual_mul_f32 v248, v2, v219
	s_delay_alu instid0(VALU_DEP_2) | instskip(SKIP_1) | instid1(VALU_DEP_3)
	v_fma_f32 v114, v0, v247, -v8
	v_mul_f32_e32 v0, v3, v219
	v_dual_fmac_f32 v115, v1, v247 :: v_dual_fmac_f32 v248, v3, v218
	s_delay_alu instid0(VALU_DEP_2)
	v_fma_f32 v247, v2, v218, -v0
	ds_load_2addr_b64 v[0:3], v112 offset0:110 offset1:165
	s_waitcnt lgkmcnt(0)
	v_mul_f32_e32 v8, v1, v213
	v_mul_f32_e32 v219, v0, v213
	;; [unrolled: 1-line block ×3, first 2 shown]
	s_delay_alu instid0(VALU_DEP_3) | instskip(NEXT) | instid1(VALU_DEP_3)
	v_fma_f32 v218, v0, v212, -v8
	v_dual_mul_f32 v0, v3, v215 :: v_dual_fmac_f32 v219, v1, v212
	s_delay_alu instid0(VALU_DEP_3) | instskip(NEXT) | instid1(VALU_DEP_2)
	v_fmac_f32_e32 v213, v3, v214
	v_fma_f32 v212, v2, v214, -v0
	s_clause 0x2
	global_load_b64 v[214:215], v[100:101], off offset:200
	global_load_b64 v[102:103], v[100:101], off offset:640
	;; [unrolled: 1-line block ×3, first 2 shown]
	ds_load_2addr_b64 v[0:3], v27 offset0:148 offset1:203
	s_waitcnt vmcnt(2) lgkmcnt(0)
	v_mul_f32_e32 v8, v1, v215
	v_mul_f32_e32 v123, v0, v215
	s_waitcnt vmcnt(1)
	v_mul_f32_e32 v215, v2, v103
	s_delay_alu instid0(VALU_DEP_3) | instskip(NEXT) | instid1(VALU_DEP_3)
	v_fma_f32 v122, v0, v214, -v8
	v_dual_mul_f32 v0, v3, v103 :: v_dual_fmac_f32 v123, v1, v214
	s_delay_alu instid0(VALU_DEP_3) | instskip(NEXT) | instid1(VALU_DEP_2)
	v_fmac_f32_e32 v215, v3, v102
	v_fma_f32 v214, v2, v102, -v0
	ds_load_2addr_b64 v[0:3], v16 offset0:186 offset1:241
	s_waitcnt lgkmcnt(0)
	v_mul_f32_e32 v8, v1, v230
	v_dual_mul_f32 v103, v0, v230 :: v_dual_mul_f32 v230, v2, v232
	s_delay_alu instid0(VALU_DEP_2) | instskip(NEXT) | instid1(VALU_DEP_2)
	v_fma_f32 v102, v0, v229, -v8
	v_dual_mul_f32 v0, v3, v232 :: v_dual_fmac_f32 v103, v1, v229
	s_delay_alu instid0(VALU_DEP_3) | instskip(NEXT) | instid1(VALU_DEP_2)
	v_fmac_f32_e32 v230, v3, v231
	v_fma_f32 v229, v2, v231, -v0
	ds_load_2addr_b64 v[0:3], v28 offset0:92 offset1:147
	s_waitcnt lgkmcnt(0)
	v_mul_f32_e32 v8, v3, v14
	v_mul_f32_e32 v232, v2, v14
	v_mul_f32_e32 v14, v0, v217
	s_delay_alu instid0(VALU_DEP_3) | instskip(SKIP_1) | instid1(VALU_DEP_4)
	v_fma_f32 v231, v2, v13, -v8
	v_mul_f32_e32 v2, v1, v217
	v_fmac_f32_e32 v232, v3, v13
	s_delay_alu instid0(VALU_DEP_4) | instskip(NEXT) | instid1(VALU_DEP_3)
	v_fmac_f32_e32 v14, v1, v216
	v_fma_f32 v13, v0, v216, -v2
	ds_load_2addr_b64 v[0:3], v24 offset0:184 offset1:239
	s_waitcnt lgkmcnt(0)
	v_mul_f32_e32 v8, v1, v244
	v_dual_mul_f32 v217, v0, v244 :: v_dual_mul_f32 v244, v2, v209
	s_delay_alu instid0(VALU_DEP_2) | instskip(NEXT) | instid1(VALU_DEP_2)
	v_fma_f32 v216, v0, v243, -v8
	v_dual_mul_f32 v0, v3, v209 :: v_dual_fmac_f32 v217, v1, v243
	s_delay_alu instid0(VALU_DEP_3) | instskip(NEXT) | instid1(VALU_DEP_2)
	v_fmac_f32_e32 v244, v3, v208
	v_fma_f32 v243, v2, v208, -v0
	s_clause 0x3
	global_load_b64 v[208:209], v[6:7], off offset:808
	global_load_b64 v[124:125], v[6:7], off offset:1248
	;; [unrolled: 1-line block ×4, first 2 shown]
	ds_load_2addr_b64 v[0:3], v26 offset0:96 offset1:151
	s_waitcnt vmcnt(3) lgkmcnt(0)
	v_mul_f32_e32 v8, v1, v209
	v_mul_f32_e32 v127, v0, v209
	s_waitcnt vmcnt(2)
	v_mul_f32_e32 v209, v2, v125
	s_delay_alu instid0(VALU_DEP_3) | instskip(NEXT) | instid1(VALU_DEP_3)
	v_fma_f32 v126, v0, v208, -v8
	v_dual_mul_f32 v0, v3, v125 :: v_dual_fmac_f32 v127, v1, v208
	s_delay_alu instid0(VALU_DEP_3) | instskip(NEXT) | instid1(VALU_DEP_2)
	v_fmac_f32_e32 v209, v3, v124
	v_fma_f32 v208, v2, v124, -v0
	ds_load_2addr_b64 v[0:3], v25 offset0:2 offset1:57
	s_waitcnt vmcnt(0) lgkmcnt(0)
	v_mul_f32_e32 v8, v3, v101
	v_mul_f32_e32 v125, v2, v101
	;; [unrolled: 1-line block ×3, first 2 shown]
	s_delay_alu instid0(VALU_DEP_3) | instskip(NEXT) | instid1(VALU_DEP_3)
	v_fma_f32 v124, v2, v100, -v8
	v_dual_mul_f32 v2, v1, v121 :: v_dual_fmac_f32 v125, v3, v100
	s_delay_alu instid0(VALU_DEP_3) | instskip(NEXT) | instid1(VALU_DEP_2)
	v_fmac_f32_e32 v101, v1, v120
	v_fma_f32 v100, v0, v120, -v2
	ds_load_2addr_b64 v[0:3], v11 offset0:94 offset1:149
	s_waitcnt lgkmcnt(0)
	v_mul_f32_e32 v8, v1, v250
	v_dual_mul_f32 v121, v0, v250 :: v_dual_mul_f32 v250, v2, v252
	s_delay_alu instid0(VALU_DEP_2) | instskip(NEXT) | instid1(VALU_DEP_2)
	v_fma_f32 v120, v0, v249, -v8
	v_dual_mul_f32 v0, v3, v252 :: v_dual_fmac_f32 v121, v1, v249
	s_delay_alu instid0(VALU_DEP_3) | instskip(NEXT) | instid1(VALU_DEP_2)
	v_fmac_f32_e32 v250, v3, v251
	v_fma_f32 v249, v2, v251, -v0
	global_load_b64 v[251:252], v[225:226], off offset:1384
	ds_load_2addr_b64 v[0:3], v17 offset0:40 offset1:95
	s_waitcnt lgkmcnt(0)
	v_mul_f32_e32 v8, v3, v221
	v_mul_f32_e32 v21, v2, v221
	s_delay_alu instid0(VALU_DEP_2) | instskip(NEXT) | instid1(VALU_DEP_2)
	v_fma_f32 v20, v2, v220, -v8
	v_fmac_f32_e32 v21, v3, v220
	global_load_b64 v[220:221], v[225:226], off offset:3144
	s_waitcnt vmcnt(1)
	v_mul_f32_e32 v2, v1, v252
	v_mul_f32_e32 v23, v0, v252
	s_delay_alu instid0(VALU_DEP_2) | instskip(NEXT) | instid1(VALU_DEP_2)
	v_fma_f32 v22, v0, v251, -v2
	v_fmac_f32_e32 v23, v1, v251
	ds_load_2addr_b64 v[0:3], v10 offset0:4 offset1:59
	s_waitcnt vmcnt(0) lgkmcnt(0)
	v_mul_f32_e32 v8, v1, v221
	v_mul_f32_e32 v226, v0, v221
	s_delay_alu instid0(VALU_DEP_2) | instskip(SKIP_1) | instid1(VALU_DEP_3)
	v_fma_f32 v225, v0, v220, -v8
	v_mul_f32_e32 v0, v3, v238
	v_dual_fmac_f32 v226, v1, v220 :: v_dual_mul_f32 v1, v2, v238
	s_delay_alu instid0(VALU_DEP_2) | instskip(NEXT) | instid1(VALU_DEP_2)
	v_fma_f32 v0, v2, v237, -v0
	v_dual_fmac_f32 v1, v3, v237 :: v_dual_add_nc_u32 v2, 0x1400, v112
	ds_store_2addr_b64 v2, v[214:215], v[100:101] offset0:75 offset1:130
	ds_load_b64 v[2:3], v112 offset:14960
	s_waitcnt lgkmcnt(0)
	v_mul_f32_e32 v8, v3, v7
	v_mul_f32_e32 v101, v2, v7
	s_delay_alu instid0(VALU_DEP_2) | instskip(NEXT) | instid1(VALU_DEP_2)
	v_fma_f32 v100, v2, v6, -v8
	v_dual_fmac_f32 v101, v3, v6 :: v_dual_add_nc_u32 v2, 0x3800, v112
	v_add_nc_u32_e32 v3, 0x2c00, v112
	ds_store_2addr_b64 v2, v[208:209], v[100:101] offset0:23 offset1:78
	ds_store_2addr_b64 v24, v[231:232], v[245:246] offset0:19 offset1:74
	;; [unrolled: 1-line block ×6, first 2 shown]
	v_mov_b32_e32 v2, v16
	ds_store_2addr_b64 v16, v[4:5], v[102:103] offset0:131 offset1:186
	ds_store_2addr_b64 v10, v[227:228], v[126:127] offset0:169 offset1:224
	ds_store_2addr_b64 v24, v[235:236], v[216:217] offset0:129 offset1:184
	ds_store_2addr_b64 v25, v[241:242], v[120:121] offset0:167 offset1:222
	ds_store_2addr_b64 v3, v[247:248], v[225:226] offset0:77 offset1:132
	ds_store_2addr_b64 v112, v[212:213], v[13:14] offset0:165 offset1:220
	v_dual_mov_b32 v6, v17 :: v_dual_add_nc_u32 v3, 0xc00, v112
	ds_store_2addr_b64 v3, v[243:244], v[210:211] offset0:111 offset1:166
	ds_store_2addr_b64 v2, v[249:250], v[233:234] offset0:21 offset1:76
	v_mov_b32_e32 v10, v2
	v_add_nc_u32_e32 v2, 0x2400, v112
	ds_store_2addr_b64 v2, v[229:230], v[22:23] offset0:113 offset1:168
	ds_store_2addr_b64 v9, v[0:1], v[239:240] offset0:59 offset1:114
	s_waitcnt lgkmcnt(0)
	s_barrier
	buffer_gl0_inv
	ds_load_2addr_b64 v[0:3], v27 offset0:38 offset1:93
	ds_load_2addr_b64 v[224:227], v6 offset0:40 offset1:95
	;; [unrolled: 1-line block ×3, first 2 shown]
	v_mov_b32_e32 v17, v24
	s_waitcnt lgkmcnt(1)
	v_dual_add_f32 v231, v0, v226 :: v_dual_add_f32 v230, v1, v227
	v_dual_sub_f32 v229, v0, v226 :: v_dual_sub_f32 v228, v1, v227
	s_waitcnt lgkmcnt(0)
	v_add_f32_e32 v223, v2, v232
	v_add_f32_e32 v215, v3, v233
	v_dual_sub_f32 v213, v2, v232 :: v_dual_sub_f32 v212, v3, v233
	ds_load_2addr_b64 v[0:3], v27 offset0:148 offset1:203
	s_waitcnt lgkmcnt(0)
	v_dual_add_f32 v211, v0, v234 :: v_dual_add_f32 v210, v1, v235
	v_dual_sub_f32 v209, v0, v234 :: v_dual_sub_f32 v208, v1, v235
	ds_load_2addr_b64 v[232:235], v9 offset0:4 offset1:59
	s_waitcnt lgkmcnt(0)
	v_dual_add_f32 v19, v2, v232 :: v_dual_add_f32 v18, v3, v233
	;; [unrolled: 4-line block ×3, first 2 shown]
	v_dual_sub_f32 v7, v0, v234 :: v_dual_sub_f32 v6, v1, v235
	ds_load_2addr_b64 v[232:235], v10 offset0:76 offset1:131
	s_waitcnt lgkmcnt(0)
	v_add_f32_e32 v114, v2, v232
	v_dual_add_f32 v120, v3, v233 :: v_dual_sub_f32 v121, v232, v2
	v_sub_f32_e32 v122, v233, v3
	ds_load_2addr_b64 v[0:3], v25 offset0:112 offset1:167
	s_waitcnt lgkmcnt(0)
	v_dual_add_f32 v126, v0, v234 :: v_dual_add_f32 v127, v1, v235
	v_dual_sub_f32 v218, v234, v0 :: v_dual_sub_f32 v219, v235, v1
	ds_load_2addr_b64 v[232:235], v10 offset0:186 offset1:241
	s_waitcnt lgkmcnt(0)
	v_dual_add_f32 v220, v2, v232 :: v_dual_add_f32 v221, v3, v233
	v_dual_sub_f32 v253, v232, v2 :: v_dual_sub_f32 v254, v233, v3
	ds_load_2addr_b64 v[0:3], v11 offset0:94 offset1:149
	s_waitcnt lgkmcnt(0)
	v_dual_mov_b32 v16, v25 :: v_dual_add_f32 v255, v0, v234
	v_dual_add_f32 v222, v1, v235 :: v_dual_sub_f32 v115, v234, v0
	v_sub_f32_e32 v232, v235, v1
	ds_load_2addr_b64 v[233:236], v28 offset0:92 offset1:147
	ds_load_2addr_b64 v[237:240], v9 offset0:114 offset1:169
	ds_load_2addr_b64 v[241:244], v24 offset0:74 offset1:129
	ds_load_2addr_b64 v[245:248], v26 offset0:96 offset1:151
	v_dual_add_f32 v214, v2, v224 :: v_dual_add_f32 v101, v3, v225
	v_sub_f32_e32 v11, v225, v3
	ds_load_2addr_b64 v[249:252], v17 offset0:184 offset1:239
	s_waitcnt lgkmcnt(3)
	v_add_f32_e32 v123, v235, v237
	v_add_f32_e32 v125, v236, v238
	s_waitcnt lgkmcnt(2)
	v_dual_add_f32 v113, v241, v239 :: v_dual_sub_f32 v236, v236, v238
	v_sub_f32_e32 v100, v224, v2
	v_add_f32_e32 v0, v231, v123
	s_waitcnt lgkmcnt(1)
	v_add_f32_e32 v26, v243, v245
	v_add_f32_e32 v28, v244, v246
	s_waitcnt lgkmcnt(0)
	v_add_f32_e32 v30, v249, v247
	v_add_f32_e32 v32, v250, v248
	;; [unrolled: 1-line block ×4, first 2 shown]
	v_dual_add_f32 v24, v242, v240 :: v_dual_sub_f32 v239, v241, v239
	v_sub_f32_e32 v35, v250, v248
	s_delay_alu instid0(VALU_DEP_3) | instskip(SKIP_2) | instid1(VALU_DEP_2)
	v_dual_sub_f32 v235, v235, v237 :: v_dual_add_f32 v4, v120, v0
	v_add_f32_e32 v0, v223, v113
	v_sub_f32_e32 v243, v243, v245
	v_add_f32_e32 v5, v126, v0
	v_add_f32_e32 v0, v215, v24
	s_delay_alu instid0(VALU_DEP_1)
	v_add_f32_e32 v25, v127, v0
	ds_load_2addr_b64 v[0:3], v112 offset1:55
	s_waitcnt lgkmcnt(0)
	v_add_f32_e32 v20, v0, v124
	v_dual_add_f32 v0, v211, v26 :: v_dual_add_f32 v21, v1, v4
	v_add_f32_e32 v22, v2, v5
	v_add_f32_e32 v23, v3, v25
	s_delay_alu instid0(VALU_DEP_3) | instskip(SKIP_1) | instid1(VALU_DEP_1)
	v_add_f32_e32 v27, v220, v0
	v_add_f32_e32 v0, v210, v28
	v_dual_add_f32 v29, v221, v0 :: v_dual_add_f32 v0, v19, v30
	s_delay_alu instid0(VALU_DEP_1) | instskip(SKIP_1) | instid1(VALU_DEP_1)
	v_add_f32_e32 v31, v255, v0
	v_add_f32_e32 v0, v18, v32
	;; [unrolled: 1-line block ×3, first 2 shown]
	ds_load_2addr_b64 v[0:3], v112 offset0:110 offset1:165
	s_waitcnt lgkmcnt(0)
	v_dual_add_f32 v102, v0, v27 :: v_dual_add_f32 v103, v1, v29
	ds_load_b64 v[0:1], v112 offset:14960
	s_waitcnt lgkmcnt(0)
	s_barrier
	buffer_gl0_inv
	v_dual_add_f32 v2, v2, v31 :: v_dual_add_f32 v3, v3, v33
	v_dual_add_f32 v227, v251, v0 :: v_dual_add_f32 v226, v252, v1
	v_dual_sub_f32 v225, v251, v0 :: v_dual_sub_f32 v216, v252, v1
	s_delay_alu instid0(VALU_DEP_2) | instskip(NEXT) | instid1(VALU_DEP_1)
	v_add_f32_e32 v0, v13, v227
	v_add_f32_e32 v224, v214, v0
	s_delay_alu instid0(VALU_DEP_4) | instskip(NEXT) | instid1(VALU_DEP_1)
	v_add_f32_e32 v0, v8, v226
	v_add_f32_e32 v217, v101, v0
	s_delay_alu instid0(VALU_DEP_3)
	v_dual_add_f32 v0, v233, v224 :: v_dual_sub_f32 v233, v123, v114
	v_sub_f32_e32 v123, v231, v123
	v_dual_sub_f32 v114, v114, v231 :: v_dual_sub_f32 v231, v125, v120
	v_dual_sub_f32 v120, v120, v230 :: v_dual_sub_f32 v125, v230, v125
	v_add_f32_e32 v230, v121, v229
	v_add_f32_e32 v1, v234, v217
	v_sub_f32_e32 v234, v121, v229
	v_sub_f32_e32 v121, v235, v121
	;; [unrolled: 1-line block ×3, first 2 shown]
	v_add_f32_e32 v230, v230, v235
	v_add_f32_e32 v235, v122, v228
	v_dual_sub_f32 v237, v122, v228 :: v_dual_sub_f32 v122, v236, v122
	v_dual_sub_f32 v228, v228, v236 :: v_dual_mul_f32 v233, 0x3f4a47b2, v233
	s_delay_alu instid0(VALU_DEP_3) | instskip(SKIP_2) | instid1(VALU_DEP_4)
	v_dual_add_f32 v235, v235, v236 :: v_dual_mul_f32 v236, 0x3d64c772, v114
	v_mul_f32_e32 v231, 0x3f4a47b2, v231
	v_sub_f32_e32 v34, v249, v247
	v_fmamk_f32 v114, v114, 0x3d64c772, v233
	s_delay_alu instid0(VALU_DEP_4) | instskip(SKIP_2) | instid1(VALU_DEP_1)
	v_fma_f32 v236, 0x3f3bfb3b, v123, -v236
	v_fma_f32 v123, 0xbf3bfb3b, v123, -v233
	v_dual_mul_f32 v233, 0x3d64c772, v120 :: v_dual_fmamk_f32 v120, v120, 0x3d64c772, v231
	v_fma_f32 v233, 0x3f3bfb3b, v125, -v233
	v_fma_f32 v125, 0xbf3bfb3b, v125, -v231
	v_mul_f32_e32 v231, 0x3f08b237, v234
	v_mul_f32_e32 v234, 0xbf5ff5aa, v229
	s_delay_alu instid0(VALU_DEP_2) | instskip(SKIP_1) | instid1(VALU_DEP_3)
	v_fma_f32 v229, 0xbf5ff5aa, v229, -v231
	v_fmamk_f32 v231, v121, 0xbeae86e6, v231
	v_fma_f32 v234, 0x3eae86e6, v121, -v234
	v_mul_f32_e32 v121, 0x3f08b237, v237
	v_fmamk_f32 v4, v4, 0xbf955555, v21
	v_fmac_f32_e32 v229, 0xbee1c552, v230
	v_fmac_f32_e32 v231, 0xbee1c552, v230
	v_fmac_f32_e32 v234, 0xbee1c552, v230
	scratch_load_b32 v230, off, off offset:452 ; 4-byte Folded Reload
	v_mul_f32_e32 v237, 0xbf5ff5aa, v228
	v_fma_f32 v228, 0xbf5ff5aa, v228, -v121
	v_fmamk_f32 v238, v122, 0xbeae86e6, v121
	v_fmamk_f32 v121, v124, 0xbf955555, v20
	v_add_f32_e32 v233, v233, v4
	v_fma_f32 v237, 0x3eae86e6, v122, -v237
	v_sub_f32_e32 v240, v242, v240
	v_add_f32_e32 v242, v120, v4
	v_add_f32_e32 v114, v114, v121
	;; [unrolled: 1-line block ×3, first 2 shown]
	v_dual_add_f32 v125, v229, v233 :: v_dual_fmac_f32 v238, 0xbee1c552, v235
	v_add_f32_e32 v236, v236, v121
	v_add_f32_e32 v241, v123, v121
	v_fmac_f32_e32 v237, 0xbee1c552, v235
	v_fmac_f32_e32 v228, 0xbee1c552, v235
	v_add_f32_e32 v120, v114, v238
	v_sub_f32_e32 v121, v242, v231
	s_delay_alu instid0(VALU_DEP_4) | instskip(NEXT) | instid1(VALU_DEP_4)
	v_dual_sub_f32 v123, v4, v234 :: v_dual_add_f32 v122, v237, v241
	v_sub_f32_e32 v124, v236, v228
	s_waitcnt vmcnt(0)
	ds_store_2addr_b64 v230, v[20:21], v[120:121] offset1:1
	ds_store_2addr_b64 v230, v[122:123], v[124:125] offset0:2 offset1:3
	v_dual_add_f32 v20, v228, v236 :: v_dual_sub_f32 v21, v233, v229
	v_dual_sub_f32 v120, v241, v237 :: v_dual_add_f32 v121, v234, v4
	v_sub_f32_e32 v122, v114, v238
	v_add_f32_e32 v123, v231, v242
	ds_store_2addr_b64 v230, v[20:21], v[120:121] offset0:4 offset1:5
	ds_store_b64 v230, v[122:123] offset:48
	v_sub_f32_e32 v4, v113, v126
	v_dual_sub_f32 v20, v126, v223 :: v_dual_sub_f32 v21, v223, v113
	v_sub_f32_e32 v113, v24, v127
	v_sub_f32_e32 v114, v127, v215
	v_add_f32_e32 v124, v219, v212
	v_sub_f32_e32 v125, v219, v212
	v_sub_f32_e32 v127, v212, v240
	v_mul_f32_e32 v4, 0x3f4a47b2, v4
	v_mul_f32_e32 v212, 0x3d64c772, v20
	v_dual_sub_f32 v244, v244, v246 :: v_dual_fmamk_f32 v5, v5, 0xbf955555, v22
	v_add_f32_e32 v120, v218, v213
	s_delay_alu instid0(VALU_DEP_4) | instskip(NEXT) | instid1(VALU_DEP_4)
	v_fmamk_f32 v20, v20, 0x3d64c772, v4
	v_fma_f32 v212, 0x3f3bfb3b, v21, -v212
	v_fma_f32 v4, 0xbf3bfb3b, v21, -v4
	v_mul_f32_e32 v21, 0x3f4a47b2, v113
	v_dual_sub_f32 v121, v218, v213 :: v_dual_sub_f32 v122, v239, v218
	v_dual_mul_f32 v113, 0x3d64c772, v114 :: v_dual_add_f32 v218, v20, v5
	s_delay_alu instid0(VALU_DEP_3) | instskip(SKIP_4) | instid1(VALU_DEP_3)
	v_fmamk_f32 v114, v114, 0x3d64c772, v21
	v_add_f32_e32 v212, v212, v5
	v_dual_add_f32 v4, v4, v5 :: v_dual_fmamk_f32 v5, v25, 0xbf955555, v23
	v_dual_sub_f32 v24, v215, v24 :: v_dual_sub_f32 v123, v213, v239
	v_sub_f32_e32 v126, v240, v219
	v_dual_add_f32 v120, v120, v239 :: v_dual_add_f32 v25, v114, v5
	scratch_load_b32 v114, off, off offset:448 ; 4-byte Folded Reload
	v_fma_f32 v113, 0x3f3bfb3b, v24, -v113
	v_fma_f32 v21, 0xbf3bfb3b, v24, -v21
	v_mul_f32_e32 v24, 0x3f08b237, v121
	v_dual_mul_f32 v121, 0xbf5ff5aa, v123 :: v_dual_add_f32 v124, v124, v240
	s_delay_alu instid0(VALU_DEP_4) | instskip(NEXT) | instid1(VALU_DEP_4)
	v_add_f32_e32 v113, v113, v5
	v_add_f32_e32 v5, v21, v5
	s_delay_alu instid0(VALU_DEP_4) | instskip(NEXT) | instid1(VALU_DEP_4)
	v_fma_f32 v213, 0xbf5ff5aa, v123, -v24
	v_fma_f32 v215, 0x3eae86e6, v122, -v121
	v_mul_f32_e32 v121, 0x3f08b237, v125
	v_fmamk_f32 v24, v122, 0xbeae86e6, v24
	v_mul_f32_e32 v122, 0xbf5ff5aa, v127
	v_fmac_f32_e32 v213, 0xbee1c552, v120
	v_fmac_f32_e32 v215, 0xbee1c552, v120
	v_fma_f32 v125, 0xbf5ff5aa, v127, -v121
	v_fmamk_f32 v127, v126, 0xbeae86e6, v121
	v_fma_f32 v126, 0x3eae86e6, v126, -v122
	s_delay_alu instid0(VALU_DEP_4) | instskip(NEXT) | instid1(VALU_DEP_4)
	v_dual_fmac_f32 v24, 0xbee1c552, v120 :: v_dual_sub_f32 v121, v5, v215
	v_fmac_f32_e32 v125, 0xbee1c552, v124
	s_delay_alu instid0(VALU_DEP_4) | instskip(NEXT) | instid1(VALU_DEP_4)
	v_fmac_f32_e32 v127, 0xbee1c552, v124
	v_fmac_f32_e32 v126, 0xbee1c552, v124
	s_delay_alu instid0(VALU_DEP_4)
	v_sub_f32_e32 v21, v25, v24
	v_add_f32_e32 v123, v213, v113
	v_sub_f32_e32 v122, v212, v125
	v_add_f32_e32 v20, v218, v127
	v_add_f32_e32 v120, v126, v4
	s_waitcnt vmcnt(0)
	ds_store_2addr_b64 v114, v[22:23], v[20:21] offset1:1
	ds_store_2addr_b64 v114, v[120:121], v[122:123] offset0:2 offset1:3
	v_add_f32_e32 v20, v125, v212
	v_dual_sub_f32 v21, v113, v213 :: v_dual_sub_f32 v22, v4, v126
	v_dual_add_f32 v23, v215, v5 :: v_dual_sub_f32 v4, v26, v220
	v_sub_f32_e32 v5, v220, v211
	v_dual_sub_f32 v120, v218, v127 :: v_dual_add_f32 v121, v24, v25
	ds_store_2addr_b64 v114, v[20:21], v[22:23] offset0:4 offset1:5
	ds_store_b64 v114, v[120:121] offset:48
	v_dual_sub_f32 v20, v211, v26 :: v_dual_sub_f32 v21, v28, v221
	v_sub_f32_e32 v22, v221, v210
	v_mul_f32_e32 v4, 0x3f4a47b2, v4
	v_dual_mul_f32 v122, 0x3d64c772, v5 :: v_dual_sub_f32 v23, v210, v28
	v_sub_f32_e32 v25, v253, v209
	v_sub_f32_e32 v28, v209, v243
	s_delay_alu instid0(VALU_DEP_4) | instskip(NEXT) | instid1(VALU_DEP_4)
	v_fmamk_f32 v5, v5, 0x3d64c772, v4
	v_fma_f32 v122, 0x3f3bfb3b, v20, -v122
	v_fma_f32 v4, 0xbf3bfb3b, v20, -v4
	v_mul_f32_e32 v20, 0x3f4a47b2, v21
	v_dual_mul_f32 v21, 0x3d64c772, v22 :: v_dual_add_f32 v24, v253, v209
	v_sub_f32_e32 v26, v243, v253
	v_sub_f32_e32 v114, v254, v208
	s_delay_alu instid0(VALU_DEP_4) | instskip(NEXT) | instid1(VALU_DEP_4)
	v_fmamk_f32 v22, v22, 0x3d64c772, v20
	v_fma_f32 v21, 0x3f3bfb3b, v23, -v21
	v_fma_f32 v20, 0xbf3bfb3b, v23, -v20
	v_mul_f32_e32 v23, 0x3f08b237, v25
	v_dual_mul_f32 v25, 0xbf5ff5aa, v28 :: v_dual_add_f32 v24, v24, v243
	v_sub_f32_e32 v120, v244, v254
	v_sub_f32_e32 v121, v208, v244
	s_delay_alu instid0(VALU_DEP_4)
	v_fma_f32 v28, 0xbf5ff5aa, v28, -v23
	v_fmamk_f32 v123, v26, 0xbeae86e6, v23
	v_fma_f32 v25, 0x3eae86e6, v26, -v25
	v_mul_f32_e32 v23, 0x3f08b237, v114
	v_add_f32_e32 v113, v254, v208
	v_fmac_f32_e32 v28, 0xbee1c552, v24
	v_fmac_f32_e32 v123, 0xbee1c552, v24
	;; [unrolled: 1-line block ×3, first 2 shown]
	scratch_load_b32 v24, off, off offset:440 ; 4-byte Folded Reload
	v_fma_f32 v114, 0xbf5ff5aa, v121, -v23
	v_fmamk_f32 v124, v120, 0xbeae86e6, v23
	v_fmamk_f32 v23, v27, 0xbf955555, v102
	v_dual_mul_f32 v26, 0xbf5ff5aa, v121 :: v_dual_add_f32 v113, v113, v244
	s_delay_alu instid0(VALU_DEP_2) | instskip(SKIP_2) | instid1(VALU_DEP_4)
	v_add_f32_e32 v5, v5, v23
	v_add_f32_e32 v27, v122, v23
	v_dual_add_f32 v4, v4, v23 :: v_dual_fmamk_f32 v23, v29, 0xbf955555, v103
	v_fma_f32 v26, 0x3eae86e6, v120, -v26
	v_fmac_f32_e32 v124, 0xbee1c552, v113
	s_delay_alu instid0(VALU_DEP_3) | instskip(SKIP_1) | instid1(VALU_DEP_4)
	v_dual_fmac_f32 v114, 0xbee1c552, v113 :: v_dual_add_f32 v29, v22, v23
	v_add_f32_e32 v122, v21, v23
	v_dual_add_f32 v125, v20, v23 :: v_dual_fmac_f32 v26, 0xbee1c552, v113
	s_delay_alu instid0(VALU_DEP_4) | instskip(NEXT) | instid1(VALU_DEP_4)
	v_add_f32_e32 v20, v5, v124
	v_dual_sub_f32 v21, v29, v123 :: v_dual_sub_f32 v120, v27, v114
	s_delay_alu instid0(VALU_DEP_3)
	v_dual_sub_f32 v23, v125, v25 :: v_dual_add_f32 v22, v26, v4
	v_add_f32_e32 v121, v28, v122
	s_waitcnt vmcnt(0)
	ds_store_2addr_b64 v24, v[102:103], v[20:21] offset1:1
	ds_store_2addr_b64 v24, v[22:23], v[120:121] offset0:2 offset1:3
	v_add_f32_e32 v20, v114, v27
	v_dual_sub_f32 v21, v122, v28 :: v_dual_sub_f32 v22, v4, v26
	v_add_f32_e32 v23, v25, v125
	v_sub_f32_e32 v102, v5, v124
	v_sub_f32_e32 v4, v30, v255
	;; [unrolled: 1-line block ×3, first 2 shown]
	v_add_f32_e32 v103, v123, v29
	ds_store_2addr_b64 v24, v[20:21], v[22:23] offset0:4 offset1:5
	ds_store_b64 v24, v[102:103] offset:48
	v_sub_f32_e32 v19, v19, v30
	v_sub_f32_e32 v20, v32, v222
	v_dual_sub_f32 v21, v222, v18 :: v_dual_mul_f32 v4, 0x3f4a47b2, v4
	v_mul_f32_e32 v28, 0x3d64c772, v5
	v_sub_f32_e32 v18, v18, v32
	v_add_f32_e32 v22, v115, v15
	v_sub_f32_e32 v23, v115, v15
	v_sub_f32_e32 v15, v15, v34
	v_fmamk_f32 v5, v5, 0x3d64c772, v4
	v_fma_f32 v28, 0x3f3bfb3b, v19, -v28
	v_fma_f32 v4, 0xbf3bfb3b, v19, -v4
	v_mul_f32_e32 v19, 0x3f4a47b2, v20
	v_mul_f32_e32 v20, 0x3d64c772, v21
	v_sub_f32_e32 v24, v34, v115
	v_add_f32_e32 v22, v22, v34
	s_delay_alu instid0(VALU_DEP_4) | instskip(NEXT) | instid1(VALU_DEP_4)
	v_dual_sub_f32 v26, v232, v14 :: v_dual_fmamk_f32 v21, v21, 0x3d64c772, v19
	v_fma_f32 v20, 0x3f3bfb3b, v18, -v20
	v_fma_f32 v18, 0xbf3bfb3b, v18, -v19
	v_mul_f32_e32 v19, 0x3f08b237, v23
	v_mul_f32_e32 v23, 0xbf5ff5aa, v15
	v_dual_add_f32 v25, v232, v14 :: v_dual_sub_f32 v14, v14, v35
	v_sub_f32_e32 v27, v35, v232
	s_delay_alu instid0(VALU_DEP_4)
	v_fma_f32 v29, 0xbf5ff5aa, v15, -v19
	v_fmamk_f32 v30, v24, 0xbeae86e6, v19
	v_fma_f32 v23, 0x3eae86e6, v24, -v23
	v_mul_f32_e32 v15, 0x3f08b237, v26
	v_mul_f32_e32 v19, 0xbf5ff5aa, v14
	v_fmac_f32_e32 v29, 0xbee1c552, v22
	v_fmac_f32_e32 v30, 0xbee1c552, v22
	;; [unrolled: 1-line block ×3, first 2 shown]
	scratch_load_b32 v22, off, off offset:420 ; 4-byte Folded Reload
	v_fma_f32 v24, 0xbf5ff5aa, v14, -v15
	v_dual_fmamk_f32 v14, v31, 0xbf955555, v2 :: v_dual_add_f32 v25, v25, v35
	v_fmamk_f32 v26, v27, 0xbeae86e6, v15
	v_fma_f32 v27, 0x3eae86e6, v27, -v19
	s_delay_alu instid0(VALU_DEP_3)
	v_add_f32_e32 v5, v5, v14
	v_add_f32_e32 v28, v28, v14
	;; [unrolled: 1-line block ×3, first 2 shown]
	v_fmamk_f32 v14, v33, 0xbf955555, v3
	v_fmac_f32_e32 v26, 0xbee1c552, v25
	v_fmac_f32_e32 v27, 0xbee1c552, v25
	s_delay_alu instid0(VALU_DEP_3)
	v_dual_fmac_f32 v24, 0xbee1c552, v25 :: v_dual_add_f32 v31, v21, v14
	v_add_f32_e32 v32, v20, v14
	v_add_f32_e32 v33, v18, v14
	;; [unrolled: 1-line block ×4, first 2 shown]
	v_dual_sub_f32 v15, v31, v30 :: v_dual_sub_f32 v20, v28, v24
	s_delay_alu instid0(VALU_DEP_4)
	v_sub_f32_e32 v19, v33, v23
	v_add_f32_e32 v21, v29, v32
	s_waitcnt vmcnt(0)
	ds_store_2addr_b64 v22, v[2:3], v[14:15] offset1:1
	ds_store_2addr_b64 v22, v[18:19], v[20:21] offset0:2 offset1:3
	v_add_f32_e32 v2, v24, v28
	v_sub_f32_e32 v3, v32, v29
	v_dual_sub_f32 v14, v4, v27 :: v_dual_add_f32 v15, v23, v33
	v_dual_sub_f32 v18, v5, v26 :: v_dual_add_f32 v19, v30, v31
	ds_store_2addr_b64 v22, v[2:3], v[14:15] offset0:4 offset1:5
	ds_store_b64 v22, v[18:19] offset:48
	v_dual_sub_f32 v2, v227, v214 :: v_dual_sub_f32 v3, v214, v13
	v_dual_sub_f32 v4, v13, v227 :: v_dual_sub_f32 v5, v226, v101
	s_delay_alu instid0(VALU_DEP_2) | instskip(NEXT) | instid1(VALU_DEP_3)
	v_dual_sub_f32 v13, v101, v8 :: v_dual_mul_f32 v2, 0x3f4a47b2, v2
	v_dual_mul_f32 v21, 0x3d64c772, v3 :: v_dual_sub_f32 v8, v8, v226
	v_add_f32_e32 v14, v100, v7
	v_sub_f32_e32 v15, v100, v7
	v_sub_f32_e32 v7, v7, v225
	v_fmamk_f32 v3, v3, 0x3d64c772, v2
	v_fma_f32 v21, 0x3f3bfb3b, v4, -v21
	v_fma_f32 v2, 0xbf3bfb3b, v4, -v2
	v_mul_f32_e32 v4, 0x3f4a47b2, v5
	v_dual_mul_f32 v5, 0x3d64c772, v13 :: v_dual_sub_f32 v18, v225, v100
	v_add_f32_e32 v19, v11, v6
	v_sub_f32_e32 v20, v11, v6
	s_delay_alu instid0(VALU_DEP_4) | instskip(NEXT) | instid1(VALU_DEP_4)
	v_dual_sub_f32 v6, v6, v216 :: v_dual_fmamk_f32 v13, v13, 0x3d64c772, v4
	v_fma_f32 v5, 0x3f3bfb3b, v8, -v5
	v_fma_f32 v4, 0xbf3bfb3b, v8, -v4
	v_mul_f32_e32 v8, 0x3f08b237, v15
	v_mul_f32_e32 v15, 0xbf5ff5aa, v7
	v_sub_f32_e32 v11, v216, v11
	v_dual_add_f32 v19, v19, v216 :: v_dual_add_f32 v14, v14, v225
	s_delay_alu instid0(VALU_DEP_4)
	v_fma_f32 v22, 0xbf5ff5aa, v7, -v8
	v_fmamk_f32 v8, v18, 0xbeae86e6, v8
	v_fma_f32 v15, 0x3eae86e6, v18, -v15
	v_mul_f32_e32 v7, 0x3f08b237, v20
	v_mul_f32_e32 v18, 0xbf5ff5aa, v6
	v_fmac_f32_e32 v22, 0xbee1c552, v14
	v_fmac_f32_e32 v8, 0xbee1c552, v14
	;; [unrolled: 1-line block ×3, first 2 shown]
	v_fma_f32 v20, 0xbf5ff5aa, v6, -v7
	v_fmamk_f32 v23, v11, 0xbeae86e6, v7
	v_fma_f32 v11, 0x3eae86e6, v11, -v18
	v_fmamk_f32 v6, v224, 0xbf955555, v0
	s_delay_alu instid0(VALU_DEP_4) | instskip(NEXT) | instid1(VALU_DEP_4)
	v_fmac_f32_e32 v20, 0xbee1c552, v19
	v_fmac_f32_e32 v23, 0xbee1c552, v19
	s_delay_alu instid0(VALU_DEP_4) | instskip(SKIP_4) | instid1(VALU_DEP_3)
	v_fmac_f32_e32 v11, 0xbee1c552, v19
	scratch_load_b32 v19, off, off offset:384 ; 4-byte Folded Reload
	v_add_f32_e32 v24, v2, v6
	v_fmamk_f32 v2, v217, 0xbf955555, v1
	v_add_f32_e32 v18, v3, v6
	v_dual_add_f32 v21, v21, v6 :: v_dual_add_f32 v6, v11, v24
	s_delay_alu instid0(VALU_DEP_3) | instskip(SKIP_2) | instid1(VALU_DEP_4)
	v_add_f32_e32 v25, v13, v2
	v_add_f32_e32 v5, v5, v2
	;; [unrolled: 1-line block ×3, first 2 shown]
	v_dual_add_f32 v2, v18, v23 :: v_dual_sub_f32 v13, v21, v20
	s_delay_alu instid0(VALU_DEP_3) | instskip(NEXT) | instid1(VALU_DEP_3)
	v_dual_sub_f32 v3, v25, v8 :: v_dual_add_f32 v14, v22, v5
	v_sub_f32_e32 v7, v4, v15
	s_waitcnt vmcnt(0)
	ds_store_2addr_b64 v19, v[0:1], v[2:3] offset1:1
	ds_store_2addr_b64 v19, v[6:7], v[13:14] offset0:2 offset1:3
	v_dual_add_f32 v0, v20, v21 :: v_dual_sub_f32 v1, v5, v22
	v_dual_sub_f32 v208, v24, v11 :: v_dual_add_f32 v209, v15, v4
	v_dual_sub_f32 v210, v18, v23 :: v_dual_add_f32 v211, v8, v25
	ds_store_2addr_b64 v19, v[0:1], v[208:209] offset0:4 offset1:5
	ds_store_b64 v19, v[210:211] offset:48
	v_add_nc_u32_e32 v0, 0xc00, v112
	s_waitcnt lgkmcnt(0)
	s_barrier
	buffer_gl0_inv
	ds_load_b64 v[100:101], v112 offset:14880
	ds_load_2addr_b64 v[220:223], v17 offset0:94 offset1:149
	ds_load_2addr_b64 v[224:227], v0 offset0:76 offset1:141
	;; [unrolled: 1-line block ×4, first 2 shown]
	v_dual_mov_b32 v25, v9 :: v_dual_add_nc_u32 v0, 0x2c00, v112
	v_dual_mov_b32 v21, v12 :: v_dual_add_nc_u32 v4, 0x2800, v112
	v_add_nc_u32_e32 v20, 0x400, v112
	ds_load_2addr_b64 v[8:11], v0 offset0:102 offset1:167
	v_add_nc_u32_e32 v0, 0x3400, v112
	ds_load_2addr_b64 v[12:15], v0 offset0:86 offset1:141
	ds_load_2addr_b64 v[240:243], v16 offset0:42 offset1:107
	;; [unrolled: 1-line block ×4, first 2 shown]
	ds_load_2addr_b64 v[4:7], v4 offset1:55
	ds_load_2addr_b64 v[216:219], v112 offset1:55
	ds_load_2addr_b64 v[212:215], v112 offset0:110 offset1:175
	ds_load_2addr_b64 v[232:235], v21 offset0:188 offset1:243
	;; [unrolled: 1-line block ×5, first 2 shown]
	s_and_saveexec_b32 s0, vcc_lo
	s_cbranch_execz .LBB0_7
; %bb.6:
	ds_load_2addr_b64 v[21:24], v21 offset0:3 offset1:178
	ds_load_2addr_b64 v[208:211], v20 offset0:37 offset1:212
	v_add_nc_u32_e32 v20, 0x1a00, v112
	s_waitcnt lgkmcnt(1)
	scratch_store_b128 off, v[21:24], off offset:4 ; 16-byte Folded Spill
	v_add_nc_u32_e32 v21, 0x2400, v112
	ds_load_2addr_b64 v[21:24], v21 offset0:63 offset1:238
	s_waitcnt lgkmcnt(0)
	scratch_store_b128 off, v[21:24], off offset:44 ; 16-byte Folded Spill
	ds_load_2addr_b64 v[21:24], v25 offset0:29 offset1:204
	s_waitcnt lgkmcnt(0)
	scratch_store_b128 off, v[21:24], off offset:28 ; 16-byte Folded Spill
	ds_load_b64 v[21:22], v112 offset:15320
	s_waitcnt lgkmcnt(0)
	scratch_store_b64 off, v[21:22], off offset:20 ; 8-byte Folded Spill
	ds_load_2addr_b64 v[20:23], v20 offset0:33 offset1:208
	s_waitcnt lgkmcnt(0)
	scratch_store_b128 off, v[20:23], off offset:60 ; 16-byte Folded Spill
.LBB0_7:
	s_or_b32 exec_lo, exec_lo, s0
	s_waitcnt lgkmcnt(16)
	v_mul_f32_e32 v20, v79, v100
	v_mul_f32_e32 v102, v79, v101
	s_waitcnt lgkmcnt(14)
	v_mul_f32_e32 v28, v47, v225
	s_delay_alu instid0(VALU_DEP_3)
	v_fma_f32 v79, v78, v101, -v20
	scratch_load_b128 v[20:23], off, off offset:424 ; 16-byte Folded Reload
	v_fmac_f32_e32 v102, v78, v100
	s_waitcnt lgkmcnt(0)
	v_mul_f32_e32 v78, v77, v19
	v_fmac_f32_e32 v28, v46, v224
	s_delay_alu instid0(VALU_DEP_2) | instskip(SKIP_1) | instid1(VALU_DEP_1)
	v_fmac_f32_e32 v78, v76, v18
	v_dual_mul_f32 v18, v77, v18 :: v_dual_mul_f32 v77, v55, v13
	v_fma_f32 v18, v76, v19, -v18
	s_delay_alu instid0(VALU_DEP_2) | instskip(SKIP_1) | instid1(VALU_DEP_2)
	v_dual_mul_f32 v76, v65, v17 :: v_dual_fmac_f32 v77, v54, v12
	v_mul_f32_e32 v12, v55, v12
	v_fmac_f32_e32 v76, v64, v16
	v_dual_mul_f32 v16, v65, v16 :: v_dual_mul_f32 v65, v67, v15
	s_delay_alu instid0(VALU_DEP_1) | instskip(NEXT) | instid1(VALU_DEP_2)
	v_fma_f32 v64, v64, v17, -v16
	v_fmac_f32_e32 v65, v66, v14
	v_dual_mul_f32 v14, v67, v14 :: v_dual_mul_f32 v67, v53, v11
	v_mul_f32_e32 v17, v69, v251
	v_fma_f32 v100, v54, v13, -v12
	v_mul_f32_e32 v54, v59, v3
	s_delay_alu instid0(VALU_DEP_4)
	v_fma_f32 v66, v66, v15, -v14
	v_fmac_f32_e32 v67, v52, v10
	v_mul_f32_e32 v10, v53, v10
	v_mul_f32_e32 v14, v75, v9
	v_fmac_f32_e32 v54, v58, v2
	v_mul_f32_e32 v2, v59, v2
	v_mul_f32_e32 v15, v71, v253
	v_fmac_f32_e32 v17, v68, v250
	v_mov_b32_e32 v13, v79
	s_delay_alu instid0(VALU_DEP_4) | instskip(SKIP_4) | instid1(VALU_DEP_4)
	v_fma_f32 v55, v58, v3, -v2
	v_mul_f32_e32 v2, v51, v1
	v_mul_f32_e32 v3, v71, v252
	v_fma_f32 v10, v52, v11, -v10
	v_dual_mul_f32 v52, v57, v5 :: v_dual_fmac_f32 v15, v70, v252
	v_fmac_f32_e32 v2, v50, v0
	v_mul_f32_e32 v0, v51, v0
	v_fma_f32 v19, v70, v253, -v3
	s_delay_alu instid0(VALU_DEP_4) | instskip(SKIP_3) | instid1(VALU_DEP_3)
	v_fmac_f32_e32 v52, v56, v4
	v_mul_f32_e32 v4, v57, v4
	v_dual_mul_f32 v3, v69, v250 :: v_dual_fmac_f32 v14, v74, v8
	v_mul_f32_e32 v8, v75, v8
	v_fma_f32 v53, v56, v5, -v4
	v_fma_f32 v4, v50, v1, -v0
	v_mul_f32_e32 v0, v49, v255
	v_mul_f32_e32 v1, v49, v254
	;; [unrolled: 1-line block ×3, first 2 shown]
	v_dual_mul_f32 v12, v73, v7 :: v_dual_mul_f32 v5, v39, v244
	s_delay_alu instid0(VALU_DEP_4) | instskip(NEXT) | instid1(VALU_DEP_4)
	v_fmac_f32_e32 v0, v48, v254
	v_fma_f32 v1, v48, v255, -v1
	v_fma_f32 v48, v68, v251, -v3
	v_fmac_f32_e32 v49, v40, v248
	v_dual_fmac_f32 v12, v72, v6 :: v_dual_mul_f32 v3, v41, v248
	v_mul_f32_e32 v6, v73, v6
	s_delay_alu instid0(VALU_DEP_2) | instskip(SKIP_2) | instid1(VALU_DEP_2)
	v_fma_f32 v41, v40, v249, -v3
	v_mul_f32_e32 v40, v43, v247
	v_mul_f32_e32 v3, v43, v246
	v_fmac_f32_e32 v40, v42, v246
	s_delay_alu instid0(VALU_DEP_2) | instskip(SKIP_3) | instid1(VALU_DEP_3)
	v_fma_f32 v42, v42, v247, -v3
	v_mul_f32_e32 v3, v39, v245
	v_fma_f32 v6, v72, v7, -v6
	v_mul_f32_e32 v7, v37, v242
	v_fmac_f32_e32 v3, v38, v244
	scratch_store_b32 off, v6, off offset:384 ; 4-byte Folded Spill
	v_fma_f32 v6, v38, v245, -v5
	v_mul_f32_e32 v5, v37, v243
	v_fma_f32 v16, v74, v9, -v8
	v_mul_f32_e32 v8, v63, v240
	v_fma_f32 v7, v36, v243, -v7
	s_delay_alu instid0(VALU_DEP_4) | instskip(NEXT) | instid1(VALU_DEP_3)
	v_dual_fmac_f32 v5, v36, v242 :: v_dual_mul_f32 v36, v63, v241
	v_fma_f32 v37, v62, v241, -v8
	v_mul_f32_e32 v8, v61, v238
	s_delay_alu instid0(VALU_DEP_3) | instskip(SKIP_1) | instid1(VALU_DEP_3)
	v_fmac_f32_e32 v36, v62, v240
	v_mul_f32_e32 v62, v45, v231
	v_fma_f32 v39, v60, v239, -v8
	s_delay_alu instid0(VALU_DEP_2) | instskip(SKIP_3) | instid1(VALU_DEP_2)
	v_fmac_f32_e32 v62, v44, v230
	s_waitcnt vmcnt(0)
	v_mul_f32_e32 v8, v21, v236
	v_dual_mul_f32 v32, v23, v235 :: v_dual_mul_f32 v43, v21, v237
	v_fma_f32 v50, v20, v237, -v8
	v_mul_f32_e32 v8, v23, v234
	s_delay_alu instid0(VALU_DEP_3) | instskip(NEXT) | instid1(VALU_DEP_2)
	v_dual_fmac_f32 v32, v22, v234 :: v_dual_fmac_f32 v43, v20, v236
	v_fma_f32 v33, v22, v235, -v8
	scratch_load_b128 v[21:24], off, off offset:404 ; 16-byte Folded Reload
	s_waitcnt vmcnt(0)
	v_mul_f32_e32 v8, v24, v233
	v_dual_mul_f32 v9, v24, v232 :: v_dual_mul_f32 v20, v22, v226
	s_delay_alu instid0(VALU_DEP_2) | instskip(NEXT) | instid1(VALU_DEP_2)
	v_dual_mul_f32 v11, v22, v227 :: v_dual_fmac_f32 v8, v23, v232
	v_fma_f32 v9, v23, v233, -v9
	scratch_load_b128 v[23:26], off, off offset:388 ; 16-byte Folded Reload
	v_fma_f32 v51, v21, v227, -v20
	v_dual_mul_f32 v20, v47, v224 :: v_dual_fmac_f32 v11, v21, v226
	s_delay_alu instid0(VALU_DEP_1) | instskip(SKIP_1) | instid1(VALU_DEP_1)
	v_fma_f32 v29, v46, v225, -v20
	v_mul_f32_e32 v20, v45, v230
	v_fma_f32 v63, v44, v231, -v20
	scratch_load_b128 v[44:47], off, off offset:368 ; 16-byte Folded Reload
	s_waitcnt vmcnt(0)
	s_waitcnt_vscnt null, 0x0
	s_barrier
	buffer_gl0_inv
	v_dual_add_f32 v243, v213, v63 :: v_dual_mul_f32 v30, v24, v229
	s_delay_alu instid0(VALU_DEP_1) | instskip(SKIP_2) | instid1(VALU_DEP_2)
	v_fmac_f32_e32 v30, v23, v228
	v_mul_f32_e32 v20, v24, v228
	v_mul_f32_e32 v24, v26, v223
	v_fma_f32 v31, v23, v229, -v20
	v_mul_f32_e32 v20, v26, v222
	s_delay_alu instid0(VALU_DEP_3) | instskip(SKIP_1) | instid1(VALU_DEP_3)
	v_fmac_f32_e32 v24, v25, v222
	v_dual_mul_f32 v21, v45, v215 :: v_dual_mul_f32 v56, v47, v221
	v_fma_f32 v25, v25, v223, -v20
	s_delay_alu instid0(VALU_DEP_2) | instskip(NEXT) | instid1(VALU_DEP_3)
	v_dual_mul_f32 v20, v47, v220 :: v_dual_fmac_f32 v21, v44, v214
	v_fmac_f32_e32 v56, v46, v220
	s_delay_alu instid0(VALU_DEP_2) | instskip(SKIP_1) | instid1(VALU_DEP_4)
	v_fma_f32 v57, v46, v221, -v20
	v_mul_f32_e32 v20, v45, v214
	v_add_f32_e32 v47, v21, v77
	s_delay_alu instid0(VALU_DEP_2) | instskip(NEXT) | instid1(VALU_DEP_1)
	v_fma_f32 v22, v44, v215, -v20
	v_sub_f32_e32 v34, v22, v100
	v_mul_f32_e32 v38, v61, v239
	v_add_f32_e32 v247, v217, v22
	s_delay_alu instid0(VALU_DEP_3) | instskip(SKIP_4) | instid1(VALU_DEP_4)
	v_mul_f32_e32 v45, 0xbf4178ce, v34
	v_mul_f32_e32 v23, 0xbf0a6770, v34
	;; [unrolled: 1-line block ×5, first 2 shown]
	v_fmamk_f32 v20, v47, 0x3f575c64, v23
	v_fma_f32 v23, 0x3f575c64, v47, -v23
	v_fmamk_f32 v26, v47, 0x3ed4b147, v27
	v_fma_f32 v27, 0x3ed4b147, v47, -v27
	;; [unrolled: 2-line block ×3, first 2 shown]
	v_dual_add_f32 v223, v216, v23 :: v_dual_fmamk_f32 v46, v47, 0xbf75a155, v58
	s_delay_alu instid0(VALU_DEP_4)
	v_add_f32_e32 v221, v216, v27
	v_dual_add_f32 v245, v216, v20 :: v_dual_fmamk_f32 v34, v47, 0xbf27a4f4, v45
	v_add_f32_e32 v227, v216, v26
	v_fma_f32 v45, 0xbf27a4f4, v47, -v45
	v_fma_f32 v47, 0xbf75a155, v47, -v58
	v_dual_add_f32 v58, v22, v100 :: v_dual_add_f32 v215, v216, v35
	v_dual_sub_f32 v74, v21, v77 :: v_dual_add_f32 v225, v216, v44
	v_add_f32_e32 v115, v216, v34
	s_delay_alu instid0(VALU_DEP_3)
	v_mul_f32_e32 v59, 0xbf27a4f4, v58
	v_mul_f32_e32 v69, 0x3f575c64, v58
	;; [unrolled: 1-line block ×3, first 2 shown]
	v_fmac_f32_e32 v38, v60, v238
	v_mul_f32_e32 v60, 0xbe11bafb, v58
	v_fmamk_f32 v70, v74, 0x3f4178ce, v59
	v_fmac_f32_e32 v59, 0xbf4178ce, v74
	v_mul_f32_e32 v58, 0xbf75a155, v58
	v_fmamk_f32 v72, v74, 0x3f0a6770, v69
	v_fmac_f32_e32 v69, 0xbf0a6770, v74
	v_fmamk_f32 v71, v74, 0x3f68dda4, v61
	v_fmac_f32_e32 v61, 0xbf68dda4, v74
	;; [unrolled: 2-line block ×4, first 2 shown]
	v_sub_f32_e32 v74, v31, v66
	v_add_f32_e32 v220, v217, v61
	v_add_f32_e32 v226, v217, v71
	v_dual_add_f32 v71, v219, v31 :: v_dual_add_f32 v222, v217, v69
	s_delay_alu instid0(VALU_DEP_4) | instskip(SKIP_2) | instid1(VALU_DEP_1)
	v_mul_f32_e32 v101, 0xbf0a6770, v74
	v_mul_f32_e32 v103, 0xbf4178ce, v74
	v_add_f32_e32 v75, v30, v65
	v_fma_f32 v120, 0x3f575c64, v75, -v101
	s_delay_alu instid0(VALU_DEP_3) | instskip(SKIP_2) | instid1(VALU_DEP_4)
	v_fmamk_f32 v125, v75, 0xbf27a4f4, v103
	v_fma_f32 v126, 0xbf27a4f4, v75, -v103
	v_add_f32_e32 v103, v216, v45
	v_dual_add_f32 v61, v218, v120 :: v_dual_fmamk_f32 v114, v75, 0x3f575c64, v101
	v_mul_f32_e32 v101, 0xbf68dda4, v74
	v_add_f32_e32 v120, v62, v102
	v_add_f32_e32 v224, v217, v73
	;; [unrolled: 1-line block ×4, first 2 shown]
	v_fmamk_f32 v121, v75, 0x3ed4b147, v101
	v_fma_f32 v122, 0x3ed4b147, v75, -v101
	v_dual_mul_f32 v101, 0xbf7d64f0, v74 :: v_dual_sub_f32 v114, v63, v13
	v_dual_add_f32 v244, v217, v72 :: v_dual_add_f32 v27, v218, v126
	s_delay_alu instid0(VALU_DEP_2) | instskip(SKIP_3) | instid1(VALU_DEP_4)
	v_dual_add_f32 v72, v216, v47 :: v_dual_fmamk_f32 v123, v75, 0xbe11bafb, v101
	v_fma_f32 v124, 0xbe11bafb, v75, -v101
	v_add_f32_e32 v101, v217, v59
	v_dual_add_f32 v59, v218, v121 :: v_dual_mul_f32 v74, 0xbe903f40, v74
	v_add_f32_e32 v45, v218, v123
	s_delay_alu instid0(VALU_DEP_4)
	v_add_f32_e32 v35, v218, v124
	v_mul_f32_e32 v121, 0xbf0a6770, v114
	v_mul_f32_e32 v123, 0xbf68dda4, v114
	v_fmamk_f32 v127, v75, 0xbf75a155, v74
	v_fma_f32 v228, 0xbf75a155, v75, -v74
	v_dual_add_f32 v74, v31, v66 :: v_dual_sub_f32 v75, v30, v65
	v_add_f32_e32 v31, v218, v125
	v_mul_f32_e32 v125, 0xbf7d64f0, v114
	v_mul_f32_e32 v126, 0xbf4178ce, v114
	s_delay_alu instid0(VALU_DEP_4)
	v_mul_f32_e32 v234, 0xbf27a4f4, v74
	v_mul_f32_e32 v229, 0x3f575c64, v74
	;; [unrolled: 1-line block ×5, first 2 shown]
	v_fmamk_f32 v237, v75, 0x3f4178ce, v234
	v_fmac_f32_e32 v234, 0xbf4178ce, v75
	v_fmamk_f32 v230, v75, 0x3f0a6770, v229
	v_fmamk_f32 v236, v75, 0x3f7d64f0, v233
	v_mul_f32_e32 v114, 0xbe903f40, v114
	v_fmac_f32_e32 v229, 0xbf0a6770, v75
	v_dual_fmamk_f32 v232, v75, 0x3f68dda4, v231 :: v_dual_add_f32 v47, v218, v122
	v_fmac_f32_e32 v231, 0xbf68dda4, v75
	v_fmac_f32_e32 v233, 0xbf7d64f0, v75
	v_dual_fmamk_f32 v238, v75, 0x3e903f40, v235 :: v_dual_add_f32 v23, v218, v127
	v_dual_fmac_f32 v235, 0xbe903f40, v75 :: v_dual_add_f32 v246, v216, v21
	v_add_f32_e32 v75, v216, v46
	v_add_f32_e32 v113, v217, v70
	;; [unrolled: 1-line block ×3, first 2 shown]
	v_fmamk_f32 v122, v120, 0x3f575c64, v121
	v_fma_f32 v121, 0x3f575c64, v120, -v121
	v_fmamk_f32 v124, v120, 0x3ed4b147, v123
	v_fma_f32 v123, 0x3ed4b147, v120, -v123
	v_dual_fmamk_f32 v127, v120, 0xbe11bafb, v125 :: v_dual_add_f32 v20, v218, v228
	v_fma_f32 v125, 0xbe11bafb, v120, -v125
	v_fmamk_f32 v216, v120, 0xbf27a4f4, v126
	v_fma_f32 v126, 0xbf27a4f4, v120, -v126
	v_sub_f32_e32 v218, v62, v102
	v_add_f32_e32 v214, v217, v60
	v_dual_add_f32 v74, v217, v68 :: v_dual_fmamk_f32 v217, v120, 0xbf75a155, v114
	v_fma_f32 v114, 0xbf75a155, v120, -v114
	v_add_f32_e32 v120, v63, v13
	v_add_f32_e32 v68, v219, v230
	;; [unrolled: 1-line block ×6, first 2 shown]
	v_dual_add_f32 v26, v219, v234 :: v_dual_add_f32 v239, v212, v121
	v_add_f32_e32 v22, v219, v238
	v_add_f32_e32 v21, v219, v235
	v_dual_add_f32 v235, v212, v123 :: v_dual_mul_f32 v248, 0xbe11bafb, v120
	v_dual_add_f32 v60, v219, v229 :: v_dual_mul_f32 v249, 0xbf27a4f4, v120
	v_add_f32_e32 v58, v219, v232
	v_mul_f32_e32 v219, 0x3f575c64, v120
	v_dual_add_f32 v63, v212, v114 :: v_dual_add_f32 v114, v246, v56
	s_delay_alu instid0(VALU_DEP_2) | instskip(SKIP_1) | instid1(VALU_DEP_1)
	v_dual_add_f32 v233, v212, v127 :: v_dual_fmamk_f32 v228, v218, 0x3f0a6770, v219
	v_fmac_f32_e32 v219, 0xbf0a6770, v218
	v_dual_add_f32 v238, v213, v219 :: v_dual_add_f32 v219, v212, v126
	v_mul_f32_e32 v229, 0x3ed4b147, v120
	v_mul_f32_e32 v120, 0xbf75a155, v120
	s_delay_alu instid0(VALU_DEP_1) | instskip(SKIP_1) | instid1(VALU_DEP_1)
	v_fmamk_f32 v251, v218, 0x3e903f40, v120
	v_fmac_f32_e32 v120, 0xbe903f40, v218
	v_dual_add_f32 v79, v213, v120 :: v_dual_add_f32 v120, v247, v57
	v_sub_f32_e32 v247, v9, v1
	v_dual_sub_f32 v246, v57, v10 :: v_dual_add_f32 v237, v212, v124
	s_delay_alu instid0(VALU_DEP_3) | instskip(NEXT) | instid1(VALU_DEP_1)
	v_add_f32_e32 v120, v120, v51
	v_add_f32_e32 v120, v120, v9
	s_delay_alu instid0(VALU_DEP_1) | instskip(NEXT) | instid1(VALU_DEP_1)
	v_add_f32_e32 v120, v120, v7
	v_add_f32_e32 v120, v120, v6
	s_delay_alu instid0(VALU_DEP_1) | instskip(NEXT) | instid1(VALU_DEP_1)
	v_add_f32_e32 v120, v120, v1
	v_add_f32_e32 v120, v120, v4
	s_delay_alu instid0(VALU_DEP_1) | instskip(SKIP_2) | instid1(VALU_DEP_3)
	v_add_f32_e32 v121, v120, v10
	v_dual_add_f32 v10, v57, v10 :: v_dual_add_f32 v57, v56, v67
	v_sub_f32_e32 v56, v56, v67
	v_dual_add_f32 v114, v114, v11 :: v_dual_add_f32 v121, v121, v100
	s_delay_alu instid0(VALU_DEP_1) | instskip(NEXT) | instid1(VALU_DEP_1)
	v_add_f32_e32 v114, v114, v8
	v_add_f32_e32 v114, v114, v5
	s_delay_alu instid0(VALU_DEP_1) | instskip(NEXT) | instid1(VALU_DEP_1)
	v_add_f32_e32 v114, v114, v3
	v_add_f32_e32 v114, v114, v0
	;; [unrolled: 3-line block ×3, first 2 shown]
	s_delay_alu instid0(VALU_DEP_1) | instskip(SKIP_1) | instid1(VALU_DEP_1)
	v_add_f32_e32 v120, v114, v77
	v_mul_f32_e32 v114, 0xbf68dda4, v246
	v_fmamk_f32 v67, v57, 0x3ed4b147, v114
	v_fmamk_f32 v230, v218, 0x3f68dda4, v229
	v_fmac_f32_e32 v229, 0xbf68dda4, v218
	v_fmamk_f32 v250, v218, 0x3f4178ce, v249
	v_fmamk_f32 v231, v218, 0x3f7d64f0, v248
	v_dual_add_f32 v77, v67, v245 :: v_dual_fmac_f32 v248, 0xbf7d64f0, v218
	s_delay_alu instid0(VALU_DEP_4)
	v_dual_sub_f32 v245, v51, v4 :: v_dual_add_f32 v234, v213, v229
	v_add_f32_e32 v229, v212, v216
	v_dual_add_f32 v216, v212, v217 :: v_dual_add_f32 v217, v213, v251
	v_add_f32_e32 v241, v212, v122
	v_mul_f32_e32 v122, 0x3ed4b147, v10
	v_dual_fmac_f32 v249, 0xbf4178ce, v218 :: v_dual_add_f32 v232, v213, v231
	v_add_f32_e32 v231, v212, v125
	v_mul_f32_e32 v125, 0x3f7d64f0, v247
	s_delay_alu instid0(VALU_DEP_3) | instskip(SKIP_1) | instid1(VALU_DEP_2)
	v_dual_fmamk_f32 v67, v56, 0x3f68dda4, v122 :: v_dual_add_f32 v218, v213, v249
	v_sub_f32_e32 v249, v7, v6
	v_add_f32_e32 v100, v67, v244
	v_add_f32_e32 v244, v51, v4
	;; [unrolled: 1-line block ×3, first 2 shown]
	scratch_load_b32 v62, off, off offset:444 ; 4-byte Folded Reload
	v_sub_f32_e32 v67, v11, v2
	v_add_f32_e32 v51, v11, v2
	v_mul_f32_e32 v123, 0xbe11bafb, v244
	v_add_f32_e32 v240, v213, v228
	v_mul_f32_e32 v4, 0xbf7d64f0, v245
	v_dual_add_f32 v212, v5, v3 :: v_dual_mul_f32 v127, 0x3f0a6770, v249
	s_delay_alu instid0(VALU_DEP_4) | instskip(NEXT) | instid1(VALU_DEP_1)
	v_fmamk_f32 v11, v67, 0x3f7d64f0, v123
	v_dual_fmac_f32 v123, 0xbf7d64f0, v67 :: v_dual_add_f32 v124, v11, v100
	v_add_f32_e32 v11, v9, v1
	v_add_f32_e32 v236, v213, v230
	v_sub_f32_e32 v100, v8, v0
	s_delay_alu instid0(VALU_DEP_3) | instskip(SKIP_3) | instid1(VALU_DEP_4)
	v_dual_add_f32 v230, v213, v248 :: v_dual_mul_f32 v9, 0xbf27a4f4, v11
	v_add_f32_e32 v248, v7, v6
	v_mul_f32_e32 v7, 0xbf4178ce, v246
	v_mul_f32_e32 v126, 0xbe11bafb, v11
	v_fmamk_f32 v1, v100, 0x3f4178ce, v9
	v_fmac_f32_e32 v9, 0xbf4178ce, v100
	v_fmamk_f32 v2, v51, 0xbe11bafb, v4
	v_mul_f32_e32 v6, 0xbf75a155, v248
	s_delay_alu instid0(VALU_DEP_4) | instskip(SKIP_1) | instid1(VALU_DEP_4)
	v_add_f32_e32 v1, v1, v124
	v_add_f32_e32 v228, v213, v250
	v_dual_add_f32 v2, v2, v77 :: v_dual_add_f32 v77, v8, v0
	v_mul_f32_e32 v8, 0xbf4178ce, v247
	v_sub_f32_e32 v213, v5, v3
	v_mul_f32_e32 v5, 0xbe903f40, v249
	v_mul_f32_e32 v124, 0xbf75a155, v244
	s_delay_alu instid0(VALU_DEP_4) | instskip(NEXT) | instid1(VALU_DEP_1)
	v_fmamk_f32 v0, v77, 0xbf27a4f4, v8
	v_add_f32_e32 v0, v0, v2
	s_delay_alu instid0(VALU_DEP_4) | instskip(NEXT) | instid1(VALU_DEP_1)
	v_fmamk_f32 v2, v212, 0xbf75a155, v5
	v_add_f32_e32 v0, v2, v0
	v_fmamk_f32 v2, v213, 0x3e903f40, v6
	s_delay_alu instid0(VALU_DEP_1) | instskip(SKIP_4) | instid1(VALU_DEP_2)
	v_add_f32_e32 v1, v2, v1
	s_waitcnt vmcnt(0)
	ds_store_2addr_b64 v62, v[120:121], v[0:1] offset1:7
	v_fmamk_f32 v0, v57, 0xbf27a4f4, v7
	v_mul_f32_e32 v120, 0xbf27a4f4, v10
	v_dual_mul_f32 v121, 0x3e903f40, v245 :: v_dual_add_f32 v0, v0, v227
	s_delay_alu instid0(VALU_DEP_2) | instskip(NEXT) | instid1(VALU_DEP_2)
	v_fmamk_f32 v1, v56, 0x3f4178ce, v120
	v_fmamk_f32 v2, v51, 0xbf75a155, v121
	v_mul_f32_e32 v227, 0x3e903f40, v246
	s_delay_alu instid0(VALU_DEP_2) | instskip(SKIP_1) | instid1(VALU_DEP_1)
	v_dual_add_f32 v1, v1, v226 :: v_dual_add_f32 v0, v2, v0
	v_fmamk_f32 v2, v67, 0xbe903f40, v124
	v_dual_mul_f32 v226, 0x3f575c64, v248 :: v_dual_add_f32 v1, v2, v1
	v_fmamk_f32 v2, v77, 0xbe11bafb, v125
	s_delay_alu instid0(VALU_DEP_1) | instskip(SKIP_1) | instid1(VALU_DEP_1)
	v_add_f32_e32 v0, v2, v0
	v_fmamk_f32 v2, v100, 0xbf7d64f0, v126
	v_dual_add_f32 v1, v2, v1 :: v_dual_fmamk_f32 v2, v212, 0x3f575c64, v127
	s_delay_alu instid0(VALU_DEP_1) | instskip(SKIP_1) | instid1(VALU_DEP_1)
	v_add_f32_e32 v0, v2, v0
	v_fmamk_f32 v2, v213, 0xbf0a6770, v226
	v_dual_add_f32 v1, v2, v1 :: v_dual_fmamk_f32 v2, v57, 0xbf75a155, v227
	s_delay_alu instid0(VALU_DEP_1) | instskip(NEXT) | instid1(VALU_DEP_1)
	v_dual_add_f32 v2, v2, v225 :: v_dual_mul_f32 v225, 0xbf75a155, v10
	v_fmamk_f32 v3, v56, 0xbe903f40, v225
	s_delay_alu instid0(VALU_DEP_1) | instskip(NEXT) | instid1(VALU_DEP_1)
	v_dual_add_f32 v3, v3, v224 :: v_dual_mul_f32 v224, 0x3f68dda4, v245
	v_fmamk_f32 v250, v51, 0x3ed4b147, v224
	s_delay_alu instid0(VALU_DEP_1) | instskip(SKIP_1) | instid1(VALU_DEP_1)
	v_add_f32_e32 v2, v250, v2
	v_mul_f32_e32 v250, 0x3ed4b147, v244
	v_fmamk_f32 v251, v67, 0xbf68dda4, v250
	v_fmac_f32_e32 v250, 0x3f68dda4, v67
	s_delay_alu instid0(VALU_DEP_2) | instskip(SKIP_1) | instid1(VALU_DEP_1)
	v_add_f32_e32 v3, v251, v3
	v_mul_f32_e32 v251, 0xbf0a6770, v247
	v_fmamk_f32 v252, v77, 0x3f575c64, v251
	s_delay_alu instid0(VALU_DEP_1) | instskip(SKIP_1) | instid1(VALU_DEP_1)
	v_add_f32_e32 v2, v252, v2
	v_mul_f32_e32 v252, 0x3f575c64, v11
	v_fmamk_f32 v253, v100, 0x3f0a6770, v252
	s_delay_alu instid0(VALU_DEP_1) | instskip(SKIP_2) | instid1(VALU_DEP_2)
	v_add_f32_e32 v3, v253, v3
	v_mul_f32_e32 v253, 0xbf4178ce, v249
	v_fmac_f32_e32 v225, 0x3e903f40, v56
	v_fmamk_f32 v254, v212, 0xbf27a4f4, v253
	s_delay_alu instid0(VALU_DEP_1) | instskip(SKIP_1) | instid1(VALU_DEP_1)
	v_add_f32_e32 v2, v254, v2
	v_mul_f32_e32 v254, 0xbf27a4f4, v248
	v_fmamk_f32 v255, v213, 0x3f4178ce, v254
	s_delay_alu instid0(VALU_DEP_1)
	v_dual_add_f32 v3, v255, v3 :: v_dual_fmac_f32 v122, 0xbf68dda4, v56
	ds_store_2addr_b64 v62, v[0:1], v[2:3] offset0:14 offset1:21
	v_fma_f32 v0, 0x3ed4b147, v57, -v114
	v_fma_f32 v2, 0xbe11bafb, v51, -v4
	v_add_f32_e32 v1, v122, v222
	v_fma_f32 v4, 0xbf75a155, v51, -v121
	s_delay_alu instid0(VALU_DEP_2) | instskip(NEXT) | instid1(VALU_DEP_1)
	v_dual_add_f32 v0, v0, v223 :: v_dual_add_f32 v1, v123, v1
	v_add_f32_e32 v0, v2, v0
	v_fma_f32 v2, 0xbf27a4f4, v77, -v8
	s_delay_alu instid0(VALU_DEP_3) | instskip(SKIP_2) | instid1(VALU_DEP_4)
	v_add_f32_e32 v1, v9, v1
	v_mul_f32_e32 v9, 0xbe11bafb, v10
	v_mul_f32_e32 v8, 0x3f7d64f0, v246
	v_add_f32_e32 v0, v2, v0
	v_fma_f32 v2, 0xbf75a155, v212, -v5
	s_delay_alu instid0(VALU_DEP_1) | instskip(SKIP_1) | instid1(VALU_DEP_2)
	v_dual_add_f32 v5, v225, v214 :: v_dual_add_f32 v0, v2, v0
	v_fma_f32 v2, 0xbf27a4f4, v57, -v7
	v_add_f32_e32 v5, v250, v5
	v_fmac_f32_e32 v6, 0xbe903f40, v213
	v_fmamk_f32 v7, v56, 0xbf7d64f0, v9
	s_delay_alu instid0(VALU_DEP_4) | instskip(NEXT) | instid1(VALU_DEP_3)
	v_dual_fmac_f32 v9, 0x3f7d64f0, v56 :: v_dual_add_f32 v2, v2, v221
	v_add_f32_e32 v1, v6, v1
	v_fma_f32 v6, 0x3ed4b147, v51, -v224
	s_delay_alu instid0(VALU_DEP_3) | instskip(SKIP_2) | instid1(VALU_DEP_2)
	v_dual_add_f32 v7, v7, v113 :: v_dual_add_f32 v2, v4, v2
	v_fma_f32 v4, 0xbe11bafb, v77, -v125
	v_mul_f32_e32 v113, 0xbf0a6770, v245
	v_dual_add_f32 v9, v9, v101 :: v_dual_add_f32 v2, v4, v2
	v_fma_f32 v4, 0x3f575c64, v212, -v127
	s_delay_alu instid0(VALU_DEP_3) | instskip(SKIP_1) | instid1(VALU_DEP_3)
	v_fmamk_f32 v114, v51, 0x3f575c64, v113
	v_fma_f32 v101, 0x3f575c64, v51, -v113
	v_add_f32_e32 v2, v4, v2
	v_fma_f32 v4, 0xbf75a155, v57, -v227
	s_delay_alu instid0(VALU_DEP_1) | instskip(NEXT) | instid1(VALU_DEP_1)
	v_add_f32_e32 v4, v4, v215
	v_add_f32_e32 v4, v6, v4
	v_fma_f32 v6, 0x3f575c64, v77, -v251
	s_delay_alu instid0(VALU_DEP_1) | instskip(SKIP_1) | instid1(VALU_DEP_1)
	v_add_f32_e32 v4, v6, v4
	v_fma_f32 v6, 0xbf27a4f4, v212, -v253
	v_add_f32_e32 v4, v6, v4
	v_fmamk_f32 v6, v57, 0xbe11bafb, v8
	v_fma_f32 v8, 0xbe11bafb, v57, -v8
	s_delay_alu instid0(VALU_DEP_2) | instskip(NEXT) | instid1(VALU_DEP_2)
	v_add_f32_e32 v6, v6, v115
	v_add_f32_e32 v8, v8, v103
	s_delay_alu instid0(VALU_DEP_2) | instskip(SKIP_1) | instid1(VALU_DEP_1)
	v_add_f32_e32 v6, v114, v6
	v_mul_f32_e32 v114, 0x3f575c64, v244
	v_dual_add_f32 v8, v101, v8 :: v_dual_fmamk_f32 v115, v67, 0x3f0a6770, v114
	v_fmac_f32_e32 v114, 0xbf0a6770, v67
	s_delay_alu instid0(VALU_DEP_2) | instskip(SKIP_1) | instid1(VALU_DEP_3)
	v_dual_add_f32 v7, v115, v7 :: v_dual_fmac_f32 v120, 0xbf4178ce, v56
	v_mul_f32_e32 v115, 0xbe903f40, v247
	v_add_f32_e32 v9, v114, v9
	s_delay_alu instid0(VALU_DEP_2) | instskip(SKIP_1) | instid1(VALU_DEP_2)
	v_dual_add_f32 v3, v120, v220 :: v_dual_fmamk_f32 v120, v77, 0xbf75a155, v115
	v_fma_f32 v101, 0xbf75a155, v77, -v115
	v_add_f32_e32 v6, v120, v6
	v_mul_f32_e32 v120, 0xbf75a155, v11
	s_delay_alu instid0(VALU_DEP_1) | instskip(NEXT) | instid1(VALU_DEP_1)
	v_dual_add_f32 v8, v101, v8 :: v_dual_fmamk_f32 v121, v100, 0x3e903f40, v120
	v_dual_fmac_f32 v120, 0xbe903f40, v100 :: v_dual_add_f32 v7, v121, v7
	v_mul_f32_e32 v121, 0x3f68dda4, v249
	s_delay_alu instid0(VALU_DEP_2) | instskip(SKIP_2) | instid1(VALU_DEP_4)
	v_add_f32_e32 v9, v120, v9
	v_mul_f32_e32 v120, 0xbf7d64f0, v249
	v_fmac_f32_e32 v226, 0x3f0a6770, v213
	v_fma_f32 v101, 0x3ed4b147, v212, -v121
	v_fmamk_f32 v122, v212, 0x3ed4b147, v121
	v_mul_f32_e32 v121, 0xbe11bafb, v248
	s_delay_alu instid0(VALU_DEP_3) | instskip(NEXT) | instid1(VALU_DEP_3)
	v_dual_add_f32 v8, v101, v8 :: v_dual_mul_f32 v101, 0x3f0a6770, v246
	v_add_f32_e32 v6, v122, v6
	v_mul_f32_e32 v122, 0x3ed4b147, v248
	s_delay_alu instid0(VALU_DEP_3) | instskip(SKIP_1) | instid1(VALU_DEP_3)
	v_fmamk_f32 v103, v57, 0x3f575c64, v101
	v_fma_f32 v57, 0x3f575c64, v57, -v101
	v_fmamk_f32 v123, v213, 0xbf68dda4, v122
	s_delay_alu instid0(VALU_DEP_3) | instskip(SKIP_1) | instid1(VALU_DEP_1)
	v_add_f32_e32 v75, v103, v75
	v_mul_f32_e32 v103, 0x3f575c64, v10
	v_dual_add_f32 v7, v123, v7 :: v_dual_fmamk_f32 v10, v56, 0xbf0a6770, v103
	s_delay_alu instid0(VALU_DEP_1) | instskip(SKIP_1) | instid1(VALU_DEP_1)
	v_dual_fmac_f32 v103, 0x3f0a6770, v56 :: v_dual_add_f32 v10, v10, v74
	v_mul_f32_e32 v74, 0xbf4178ce, v245
	v_fmamk_f32 v113, v51, 0xbf27a4f4, v74
	v_fma_f32 v51, 0xbf27a4f4, v51, -v74
	v_add_f32_e32 v74, v32, v52
	v_dual_add_f32 v56, v57, v72 :: v_dual_add_f32 v57, v103, v73
	s_delay_alu instid0(VALU_DEP_4) | instskip(SKIP_1) | instid1(VALU_DEP_3)
	v_add_f32_e32 v75, v113, v75
	v_mul_f32_e32 v113, 0xbf27a4f4, v244
	v_add_f32_e32 v51, v51, v56
	s_delay_alu instid0(VALU_DEP_2) | instskip(NEXT) | instid1(VALU_DEP_1)
	v_fmamk_f32 v114, v67, 0x3f4178ce, v113
	v_dual_fmac_f32 v113, 0xbf4178ce, v67 :: v_dual_add_f32 v10, v114, v10
	v_mul_f32_e32 v114, 0x3f68dda4, v247
	s_delay_alu instid0(VALU_DEP_2) | instskip(NEXT) | instid1(VALU_DEP_2)
	v_add_f32_e32 v56, v113, v57
	v_fmamk_f32 v115, v77, 0x3ed4b147, v114
	v_fma_f32 v57, 0x3ed4b147, v77, -v114
	v_add_f32_e32 v77, v49, v40
	s_delay_alu instid0(VALU_DEP_3) | instskip(SKIP_1) | instid1(VALU_DEP_4)
	v_add_f32_e32 v75, v115, v75
	v_mul_f32_e32 v115, 0x3ed4b147, v11
	v_add_f32_e32 v51, v57, v51
	s_delay_alu instid0(VALU_DEP_2) | instskip(SKIP_2) | instid1(VALU_DEP_3)
	v_fmamk_f32 v11, v100, 0xbf68dda4, v115
	v_fmac_f32_e32 v115, 0x3f68dda4, v100
	v_dual_fmac_f32 v124, 0x3e903f40, v67 :: v_dual_add_f32 v67, v71, v25
	v_add_f32_e32 v11, v11, v10
	s_delay_alu instid0(VALU_DEP_3) | instskip(SKIP_1) | instid1(VALU_DEP_4)
	v_add_f32_e32 v57, v115, v56
	v_fma_f32 v56, 0xbe11bafb, v212, -v120
	v_dual_fmamk_f32 v10, v212, 0xbe11bafb, v120 :: v_dual_add_f32 v67, v67, v50
	v_dual_fmac_f32 v252, 0xbf0a6770, v100 :: v_dual_add_f32 v3, v124, v3
	s_delay_alu instid0(VALU_DEP_3) | instskip(NEXT) | instid1(VALU_DEP_3)
	v_dual_add_f32 v56, v56, v51 :: v_dual_add_f32 v51, v70, v24
	v_dual_add_f32 v10, v10, v75 :: v_dual_fmamk_f32 v75, v213, 0x3f7d64f0, v121
	s_delay_alu instid0(VALU_DEP_4) | instskip(NEXT) | instid1(VALU_DEP_3)
	v_dual_add_f32 v67, v67, v33 :: v_dual_sub_f32 v70, v24, v76
	v_add_f32_e32 v51, v51, v43
	v_fmac_f32_e32 v121, 0xbf7d64f0, v213
	s_delay_alu instid0(VALU_DEP_4) | instskip(NEXT) | instid1(VALU_DEP_4)
	v_dual_add_f32 v11, v75, v11 :: v_dual_fmac_f32 v254, 0xbf4178ce, v213
	v_add_f32_e32 v67, v67, v41
	s_delay_alu instid0(VALU_DEP_4) | instskip(NEXT) | instid1(VALU_DEP_4)
	v_add_f32_e32 v51, v51, v32
	v_dual_fmac_f32 v126, 0x3f7d64f0, v100 :: v_dual_add_f32 v57, v121, v57
	v_add_f32_e32 v5, v252, v5
	s_delay_alu instid0(VALU_DEP_4) | instskip(NEXT) | instid1(VALU_DEP_4)
	v_add_f32_e32 v67, v67, v42
	v_add_f32_e32 v51, v51, v49
	v_sub_f32_e32 v49, v49, v40
	v_add_f32_e32 v3, v126, v3
	v_add_f32_e32 v5, v254, v5
	;; [unrolled: 1-line block ×4, first 2 shown]
	s_delay_alu instid0(VALU_DEP_4) | instskip(NEXT) | instid1(VALU_DEP_3)
	v_add_f32_e32 v3, v226, v3
	v_add_f32_e32 v67, v67, v55
	s_delay_alu instid0(VALU_DEP_3) | instskip(SKIP_1) | instid1(VALU_DEP_3)
	v_add_f32_e32 v51, v51, v52
	v_sub_f32_e32 v52, v32, v52
	v_add_f32_e32 v67, v67, v64
	s_delay_alu instid0(VALU_DEP_3) | instskip(NEXT) | instid1(VALU_DEP_2)
	v_add_f32_e32 v51, v51, v54
	v_add_f32_e32 v66, v67, v66
	s_delay_alu instid0(VALU_DEP_2) | instskip(SKIP_1) | instid1(VALU_DEP_2)
	v_add_f32_e32 v51, v51, v76
	v_add_f32_e32 v67, v24, v76
	;; [unrolled: 1-line block ×3, first 2 shown]
	v_sub_f32_e32 v51, v25, v64
	s_delay_alu instid0(VALU_DEP_1) | instskip(NEXT) | instid1(VALU_DEP_1)
	v_dual_add_f32 v64, v25, v64 :: v_dual_mul_f32 v71, 0xbf68dda4, v51
	v_fmamk_f32 v24, v67, 0x3ed4b147, v71
	s_delay_alu instid0(VALU_DEP_1) | instskip(NEXT) | instid1(VALU_DEP_1)
	v_dual_add_f32 v24, v24, v69 :: v_dual_mul_f32 v69, 0x3ed4b147, v64
	v_fmamk_f32 v25, v70, 0x3f68dda4, v69
	v_fmac_f32_e32 v69, 0xbf68dda4, v70
	s_delay_alu instid0(VALU_DEP_2) | instskip(SKIP_3) | instid1(VALU_DEP_4)
	v_dual_add_f32 v25, v25, v68 :: v_dual_sub_f32 v68, v50, v55
	v_dual_add_f32 v50, v50, v55 :: v_dual_add_f32 v55, v43, v54
	v_sub_f32_e32 v54, v43, v54
	v_fmac_f32_e32 v122, 0x3f68dda4, v213
	v_mul_f32_e32 v43, 0xbf7d64f0, v68
	v_add_f32_e32 v60, v69, v60
	s_delay_alu instid0(VALU_DEP_2) | instskip(SKIP_1) | instid1(VALU_DEP_2)
	v_fmamk_f32 v72, v55, 0xbe11bafb, v43
	v_fma_f32 v43, 0xbe11bafb, v55, -v43
	v_add_f32_e32 v24, v72, v24
	v_mul_f32_e32 v72, 0xbe11bafb, v50
	s_delay_alu instid0(VALU_DEP_1) | instskip(NEXT) | instid1(VALU_DEP_1)
	v_fmamk_f32 v73, v54, 0x3f7d64f0, v72
	v_dual_fmac_f32 v72, 0xbf7d64f0, v54 :: v_dual_add_f32 v25, v73, v25
	v_sub_f32_e32 v73, v33, v53
	v_add_f32_e32 v53, v33, v53
	v_add_f32_e32 v76, v41, v42
	s_delay_alu instid0(VALU_DEP_3) | instskip(NEXT) | instid1(VALU_DEP_1)
	v_mul_f32_e32 v32, 0xbf4178ce, v73
	v_fmamk_f32 v33, v74, 0xbf27a4f4, v32
	s_delay_alu instid0(VALU_DEP_1) | instskip(NEXT) | instid1(VALU_DEP_1)
	v_dual_add_f32 v24, v33, v24 :: v_dual_mul_f32 v33, 0xbf27a4f4, v53
	v_fmamk_f32 v75, v52, 0x3f4178ce, v33
	v_fmac_f32_e32 v33, 0xbf4178ce, v52
	s_delay_alu instid0(VALU_DEP_2) | instskip(SKIP_1) | instid1(VALU_DEP_1)
	v_add_f32_e32 v25, v75, v25
	v_sub_f32_e32 v75, v41, v42
	v_dual_add_f32 v9, v122, v9 :: v_dual_mul_f32 v40, 0xbe903f40, v75
	s_delay_alu instid0(VALU_DEP_1) | instskip(SKIP_1) | instid1(VALU_DEP_2)
	v_fmamk_f32 v41, v77, 0xbf75a155, v40
	v_fma_f32 v40, 0xbf75a155, v77, -v40
	v_add_f32_e32 v24, v41, v24
	v_mul_f32_e32 v41, 0xbf75a155, v76
	s_delay_alu instid0(VALU_DEP_1) | instskip(SKIP_1) | instid1(VALU_DEP_2)
	v_fmamk_f32 v42, v49, 0x3e903f40, v41
	v_fmac_f32_e32 v41, 0xbe903f40, v49
	v_add_f32_e32 v25, v42, v25
	v_fma_f32 v42, 0x3ed4b147, v67, -v71
	s_delay_alu instid0(VALU_DEP_1) | instskip(NEXT) | instid1(VALU_DEP_1)
	v_add_f32_e32 v42, v42, v61
	v_dual_add_f32 v42, v43, v42 :: v_dual_add_f32 v43, v72, v60
	s_delay_alu instid0(VALU_DEP_1) | instskip(SKIP_1) | instid1(VALU_DEP_2)
	v_add_f32_e32 v33, v33, v43
	v_mul_f32_e32 v43, 0xbf27a4f4, v64
	v_add_f32_e32 v33, v41, v33
	s_delay_alu instid0(VALU_DEP_2) | instskip(SKIP_2) | instid1(VALU_DEP_3)
	v_fmamk_f32 v41, v70, 0x3f4178ce, v43
	v_fmac_f32_e32 v43, 0xbf4178ce, v70
	v_fma_f32 v32, 0xbf27a4f4, v74, -v32
	v_dual_add_f32 v41, v41, v58 :: v_dual_mul_f32 v58, 0x3e903f40, v68
	s_delay_alu instid0(VALU_DEP_2) | instskip(NEXT) | instid1(VALU_DEP_4)
	v_add_f32_e32 v32, v32, v42
	v_dual_mul_f32 v42, 0xbf4178ce, v51 :: v_dual_add_f32 v43, v43, v46
	s_delay_alu instid0(VALU_DEP_2) | instskip(NEXT) | instid1(VALU_DEP_2)
	v_add_f32_e32 v32, v40, v32
	v_fmamk_f32 v40, v67, 0xbf27a4f4, v42
	v_fma_f32 v42, 0xbf27a4f4, v67, -v42
	s_delay_alu instid0(VALU_DEP_2) | instskip(NEXT) | instid1(VALU_DEP_2)
	v_dual_add_f32 v40, v40, v59 :: v_dual_fmamk_f32 v59, v55, 0xbf75a155, v58
	v_add_f32_e32 v42, v42, v47
	s_delay_alu instid0(VALU_DEP_2) | instskip(NEXT) | instid1(VALU_DEP_1)
	v_dual_add_f32 v40, v59, v40 :: v_dual_mul_f32 v59, 0xbf75a155, v50
	v_fmamk_f32 v60, v54, 0xbe903f40, v59
	v_fmac_f32_e32 v59, 0x3e903f40, v54
	s_delay_alu instid0(VALU_DEP_2) | instskip(NEXT) | instid1(VALU_DEP_2)
	v_add_f32_e32 v41, v60, v41
	v_dual_mul_f32 v60, 0x3f7d64f0, v73 :: v_dual_add_f32 v43, v59, v43
	s_delay_alu instid0(VALU_DEP_1) | instskip(NEXT) | instid1(VALU_DEP_1)
	v_fmamk_f32 v61, v74, 0xbe11bafb, v60
	v_dual_add_f32 v40, v61, v40 :: v_dual_mul_f32 v61, 0xbe11bafb, v53
	s_delay_alu instid0(VALU_DEP_1) | instskip(SKIP_1) | instid1(VALU_DEP_2)
	v_fmamk_f32 v69, v52, 0xbf7d64f0, v61
	v_fmac_f32_e32 v61, 0x3f7d64f0, v52
	v_add_f32_e32 v41, v69, v41
	v_mul_f32_e32 v69, 0x3f0a6770, v75
	s_delay_alu instid0(VALU_DEP_3) | instskip(NEXT) | instid1(VALU_DEP_2)
	v_add_f32_e32 v43, v61, v43
	v_fmamk_f32 v71, v77, 0x3f575c64, v69
	s_delay_alu instid0(VALU_DEP_1) | instskip(SKIP_1) | instid1(VALU_DEP_1)
	v_add_f32_e32 v40, v71, v40
	v_mul_f32_e32 v71, 0x3f575c64, v76
	v_fmamk_f32 v72, v49, 0xbf0a6770, v71
	v_fmac_f32_e32 v71, 0x3f0a6770, v49
	s_delay_alu instid0(VALU_DEP_1) | instskip(SKIP_1) | instid1(VALU_DEP_1)
	v_add_f32_e32 v43, v71, v43
	v_fma_f32 v46, 0xbf75a155, v55, -v58
	v_add_f32_e32 v42, v46, v42
	v_fma_f32 v46, 0xbe11bafb, v74, -v60
	s_delay_alu instid0(VALU_DEP_1) | instskip(SKIP_1) | instid1(VALU_DEP_1)
	v_add_f32_e32 v42, v46, v42
	v_fma_f32 v46, 0x3f575c64, v77, -v69
	v_add_f32_e32 v42, v46, v42
	v_mul_f32_e32 v46, 0x3e903f40, v51
	s_delay_alu instid0(VALU_DEP_1) | instskip(SKIP_1) | instid1(VALU_DEP_2)
	v_fmamk_f32 v47, v67, 0xbf75a155, v46
	v_fma_f32 v46, 0xbf75a155, v67, -v46
	v_add_f32_e32 v45, v47, v45
	v_mul_f32_e32 v47, 0xbf75a155, v64
	s_delay_alu instid0(VALU_DEP_3) | instskip(SKIP_1) | instid1(VALU_DEP_3)
	v_add_f32_e32 v35, v46, v35
	v_dual_add_f32 v41, v72, v41 :: v_dual_mul_f32 v72, 0xbf27a4f4, v76
	v_fmamk_f32 v58, v70, 0xbe903f40, v47
	s_delay_alu instid0(VALU_DEP_1) | instskip(SKIP_1) | instid1(VALU_DEP_1)
	v_add_f32_e32 v44, v58, v44
	v_mul_f32_e32 v58, 0x3f68dda4, v68
	v_fma_f32 v46, 0x3ed4b147, v55, -v58
	s_delay_alu instid0(VALU_DEP_1) | instskip(SKIP_1) | instid1(VALU_DEP_1)
	v_add_f32_e32 v35, v46, v35
	v_fmamk_f32 v59, v55, 0x3ed4b147, v58
	v_add_f32_e32 v45, v59, v45
	v_mul_f32_e32 v59, 0x3ed4b147, v50
	s_delay_alu instid0(VALU_DEP_1) | instskip(NEXT) | instid1(VALU_DEP_1)
	v_fmamk_f32 v60, v54, 0xbf68dda4, v59
	v_dual_fmac_f32 v59, 0x3f68dda4, v54 :: v_dual_add_f32 v44, v60, v44
	v_mul_f32_e32 v60, 0xbf0a6770, v73
	s_delay_alu instid0(VALU_DEP_1) | instskip(NEXT) | instid1(VALU_DEP_1)
	v_fma_f32 v46, 0x3f575c64, v74, -v60
	v_add_f32_e32 v35, v46, v35
	v_fmamk_f32 v61, v74, 0x3f575c64, v60
	v_fmac_f32_e32 v47, 0x3e903f40, v70
	s_delay_alu instid0(VALU_DEP_2) | instskip(SKIP_1) | instid1(VALU_DEP_3)
	v_add_f32_e32 v45, v61, v45
	v_mul_f32_e32 v61, 0x3f575c64, v53
	v_dual_mul_f32 v71, 0xbf4178ce, v75 :: v_dual_add_f32 v34, v47, v34
	s_delay_alu instid0(VALU_DEP_2) | instskip(NEXT) | instid1(VALU_DEP_2)
	v_fmamk_f32 v69, v52, 0x3f0a6770, v61
	v_dual_fmac_f32 v61, 0xbf0a6770, v52 :: v_dual_add_f32 v34, v59, v34
	s_delay_alu instid0(VALU_DEP_2) | instskip(NEXT) | instid1(VALU_DEP_4)
	v_add_f32_e32 v69, v69, v44
	v_fmamk_f32 v44, v77, 0xbf27a4f4, v71
	s_delay_alu instid0(VALU_DEP_3) | instskip(NEXT) | instid1(VALU_DEP_2)
	v_add_f32_e32 v46, v61, v34
	v_dual_add_f32 v44, v44, v45 :: v_dual_fmamk_f32 v45, v49, 0x3f4178ce, v72
	v_fma_f32 v34, 0xbf27a4f4, v77, -v71
	v_fmac_f32_e32 v72, 0xbf4178ce, v49
	s_delay_alu instid0(VALU_DEP_2) | instskip(NEXT) | instid1(VALU_DEP_2)
	v_dual_add_f32 v45, v45, v69 :: v_dual_add_f32 v34, v34, v35
	v_dual_add_f32 v35, v72, v46 :: v_dual_mul_f32 v46, 0x3f7d64f0, v51
	v_mul_f32_e32 v72, 0x3ed4b147, v76
	v_mul_f32_e32 v71, 0x3f68dda4, v75
	s_delay_alu instid0(VALU_DEP_3) | instskip(NEXT) | instid1(VALU_DEP_1)
	v_fmamk_f32 v47, v67, 0xbe11bafb, v46
	v_add_f32_e32 v31, v47, v31
	v_mul_f32_e32 v47, 0xbe11bafb, v64
	s_delay_alu instid0(VALU_DEP_1) | instskip(SKIP_1) | instid1(VALU_DEP_2)
	v_fmamk_f32 v58, v70, 0xbf7d64f0, v47
	v_fmac_f32_e32 v47, 0x3f7d64f0, v70
	v_add_f32_e32 v30, v58, v30
	v_mul_f32_e32 v58, 0xbf0a6770, v68
	s_delay_alu instid0(VALU_DEP_3) | instskip(NEXT) | instid1(VALU_DEP_2)
	v_add_f32_e32 v26, v47, v26
	v_fmamk_f32 v59, v55, 0x3f575c64, v58
	s_delay_alu instid0(VALU_DEP_1) | instskip(SKIP_2) | instid1(VALU_DEP_2)
	v_add_f32_e32 v31, v59, v31
	v_mul_f32_e32 v59, 0x3f575c64, v50
	v_mul_f32_e32 v50, 0xbf27a4f4, v50
	v_fmamk_f32 v60, v54, 0x3f0a6770, v59
	v_fmac_f32_e32 v59, 0xbf0a6770, v54
	s_delay_alu instid0(VALU_DEP_2) | instskip(SKIP_1) | instid1(VALU_DEP_1)
	v_add_f32_e32 v30, v60, v30
	v_mul_f32_e32 v60, 0xbe903f40, v73
	v_dual_add_f32 v26, v59, v26 :: v_dual_fmamk_f32 v61, v74, 0xbf75a155, v60
	s_delay_alu instid0(VALU_DEP_1) | instskip(SKIP_2) | instid1(VALU_DEP_2)
	v_add_f32_e32 v31, v61, v31
	v_mul_f32_e32 v61, 0xbf75a155, v53
	v_mul_f32_e32 v53, 0x3ed4b147, v53
	v_fmamk_f32 v69, v52, 0x3e903f40, v61
	v_fmac_f32_e32 v61, 0xbe903f40, v52
	s_delay_alu instid0(VALU_DEP_2) | instskip(SKIP_1) | instid1(VALU_DEP_1)
	v_add_f32_e32 v69, v69, v30
	v_fmamk_f32 v30, v77, 0x3ed4b147, v71
	v_dual_add_f32 v30, v30, v31 :: v_dual_fmamk_f32 v31, v49, 0xbf68dda4, v72
	v_fmac_f32_e32 v72, 0x3f68dda4, v49
	s_delay_alu instid0(VALU_DEP_2) | instskip(SKIP_2) | instid1(VALU_DEP_2)
	v_add_f32_e32 v31, v31, v69
	v_fma_f32 v46, 0xbe11bafb, v67, -v46
	v_sub_f32_e32 v69, v17, v15
	v_add_f32_e32 v27, v46, v27
	v_fma_f32 v46, 0x3f575c64, v55, -v58
	s_delay_alu instid0(VALU_DEP_1) | instskip(SKIP_2) | instid1(VALU_DEP_2)
	v_add_f32_e32 v27, v46, v27
	v_fma_f32 v46, 0xbf75a155, v74, -v60
	v_mul_f32_e32 v60, 0xbf7d64f0, v75
	v_dual_add_f32 v27, v46, v27 :: v_dual_add_f32 v46, v61, v26
	v_fma_f32 v26, 0x3ed4b147, v77, -v71
	s_delay_alu instid0(VALU_DEP_1) | instskip(SKIP_1) | instid1(VALU_DEP_1)
	v_dual_add_f32 v26, v26, v27 :: v_dual_add_f32 v27, v72, v46
	v_mul_f32_e32 v46, 0x3f0a6770, v51
	v_fmamk_f32 v47, v67, 0x3f575c64, v46
	s_delay_alu instid0(VALU_DEP_1) | instskip(SKIP_1) | instid1(VALU_DEP_1)
	v_add_f32_e32 v23, v47, v23
	v_mul_f32_e32 v47, 0x3f575c64, v64
	v_dual_sub_f32 v64, v36, v12 :: v_dual_fmamk_f32 v51, v70, 0xbf0a6770, v47
	s_delay_alu instid0(VALU_DEP_1) | instskip(SKIP_1) | instid1(VALU_DEP_2)
	v_dual_add_f32 v22, v51, v22 :: v_dual_mul_f32 v51, 0xbf4178ce, v68
	v_add_f32_e32 v68, v17, v15
	v_fmamk_f32 v58, v55, 0xbf27a4f4, v51
	s_delay_alu instid0(VALU_DEP_1) | instskip(SKIP_1) | instid1(VALU_DEP_1)
	v_add_f32_e32 v23, v58, v23
	v_fmamk_f32 v58, v54, 0x3f4178ce, v50
	v_add_f32_e32 v22, v58, v22
	v_mul_f32_e32 v58, 0x3f68dda4, v73
	s_delay_alu instid0(VALU_DEP_1) | instskip(NEXT) | instid1(VALU_DEP_1)
	v_fmamk_f32 v59, v74, 0x3ed4b147, v58
	v_add_f32_e32 v23, v59, v23
	v_fmamk_f32 v59, v52, 0xbf68dda4, v53
	v_fmac_f32_e32 v50, 0xbf4178ce, v54
	v_fmac_f32_e32 v53, 0x3f68dda4, v52
	v_sub_f32_e32 v54, v39, v16
	v_sub_f32_e32 v52, v28, v78
	v_add_f32_e32 v59, v59, v22
	v_fma_f32 v46, 0x3f575c64, v67, -v46
	s_delay_alu instid0(VALU_DEP_1) | instskip(SKIP_3) | instid1(VALU_DEP_3)
	v_add_f32_e32 v20, v46, v20
	v_fma_f32 v46, 0xbf27a4f4, v55, -v51
	v_add_f32_e32 v51, v28, v78
	v_add_f32_e32 v55, v39, v16
	;; [unrolled: 1-line block ×3, first 2 shown]
	v_fma_f32 v46, 0x3ed4b147, v74, -v58
	v_add_f32_e32 v58, v38, v14
	s_delay_alu instid0(VALU_DEP_2) | instskip(SKIP_1) | instid1(VALU_DEP_1)
	v_add_f32_e32 v20, v46, v20
	v_fma_f32 v46, 0xbe11bafb, v77, -v60
	v_add_f32_e32 v20, v46, v20
	v_add_f32_e32 v46, v242, v28
	s_delay_alu instid0(VALU_DEP_1) | instskip(NEXT) | instid1(VALU_DEP_1)
	v_add_f32_e32 v46, v46, v38
	v_dual_fmac_f32 v47, 0x3f0a6770, v70 :: v_dual_add_f32 v46, v46, v36
	s_delay_alu instid0(VALU_DEP_1)
	v_add_f32_e32 v21, v47, v21
	v_dual_mul_f32 v61, 0xbe11bafb, v76 :: v_dual_fmamk_f32 v22, v77, 0xbe11bafb, v60
	scratch_load_b32 v60, off, off offset:384 ; 4-byte Folded Reload
	ds_store_2addr_b64 v62, v[6:7], v[10:11] offset0:28 offset1:35
	ds_store_2addr_b64 v62, v[56:57], v[8:9] offset0:42 offset1:49
	;; [unrolled: 1-line block ×3, first 2 shown]
	ds_store_b64 v62, v[0:1] offset:560
	scratch_load_b32 v0, off, off offset:460 ; 4-byte Folded Reload
	v_add_f32_e32 v21, v50, v21
	v_dual_add_f32 v22, v22, v23 :: v_dual_fmamk_f32 v23, v49, 0x3f7d64f0, v61
	v_add_f32_e32 v46, v46, v17
	v_add_f32_e32 v47, v243, v29
	s_delay_alu instid0(VALU_DEP_4) | instskip(NEXT) | instid1(VALU_DEP_4)
	v_add_f32_e32 v21, v53, v21
	v_dual_add_f32 v50, v29, v18 :: v_dual_add_f32 v23, v23, v59
	s_delay_alu instid0(VALU_DEP_4) | instskip(SKIP_2) | instid1(VALU_DEP_3)
	v_dual_add_f32 v46, v46, v15 :: v_dual_fmac_f32 v61, 0xbf7d64f0, v49
	v_sub_f32_e32 v49, v29, v18
	v_sub_f32_e32 v59, v38, v14
	v_dual_add_f32 v46, v46, v12 :: v_dual_add_f32 v21, v61, v21
	s_delay_alu instid0(VALU_DEP_1)
	v_dual_add_f32 v61, v36, v12 :: v_dual_add_f32 v46, v46, v14
	v_dual_add_f32 v47, v47, v39 :: v_dual_mul_f32 v14, 0xbf7d64f0, v54
	s_waitcnt vmcnt(0)
	ds_store_2addr_b64 v0, v[65:66], v[24:25] offset1:7
	ds_store_2addr_b64 v0, v[40:41], v[44:45] offset0:14 offset1:21
	ds_store_2addr_b64 v0, v[30:31], v[22:23] offset0:28 offset1:35
	ds_store_2addr_b64 v0, v[20:21], v[26:27] offset0:42 offset1:49
	ds_store_2addr_b64 v0, v[34:35], v[42:43] offset0:56 offset1:63
	ds_store_b64 v0, v[32:33] offset:560
	v_dual_add_f32 v46, v46, v78 :: v_dual_add_f32 v47, v47, v37
	scratch_load_b32 v0, off, off offset:464 ; 4-byte Folded Reload
	v_dual_add_f32 v46, v46, v102 :: v_dual_add_f32 v47, v47, v48
	s_delay_alu instid0(VALU_DEP_1) | instskip(NEXT) | instid1(VALU_DEP_1)
	v_add_f32_e32 v47, v47, v19
	v_add_f32_e32 v47, v47, v60
	s_delay_alu instid0(VALU_DEP_1) | instskip(SKIP_1) | instid1(VALU_DEP_2)
	v_dual_add_f32 v47, v47, v16 :: v_dual_fmamk_f32 v16, v58, 0xbe11bafb, v14
	v_fma_f32 v14, 0xbe11bafb, v58, -v14
	v_dual_add_f32 v47, v47, v18 :: v_dual_mul_f32 v18, 0xbf68dda4, v49
	s_delay_alu instid0(VALU_DEP_1) | instskip(SKIP_1) | instid1(VALU_DEP_2)
	v_fmamk_f32 v28, v51, 0x3ed4b147, v18
	v_fma_f32 v18, 0x3ed4b147, v51, -v18
	v_add_f32_e32 v28, v28, v241
	s_delay_alu instid0(VALU_DEP_4) | instskip(SKIP_1) | instid1(VALU_DEP_3)
	v_add_f32_e32 v47, v47, v13
	v_mov_b32_e32 v13, v60
	v_add_f32_e32 v16, v16, v28
	v_mul_f32_e32 v28, 0xbe11bafb, v55
	s_delay_alu instid0(VALU_DEP_3) | instskip(NEXT) | instid1(VALU_DEP_2)
	v_add_f32_e32 v60, v37, v13
	v_fmamk_f32 v38, v59, 0x3f7d64f0, v28
	v_dual_mul_f32 v29, 0x3ed4b147, v50 :: v_dual_add_f32 v18, v18, v239
	v_sub_f32_e32 v67, v48, v19
	v_add_f32_e32 v48, v48, v19
	v_fmac_f32_e32 v28, 0xbf7d64f0, v59
	s_delay_alu instid0(VALU_DEP_4) | instskip(NEXT) | instid1(VALU_DEP_1)
	v_fmamk_f32 v53, v52, 0x3f68dda4, v29
	v_add_f32_e32 v53, v53, v240
	s_delay_alu instid0(VALU_DEP_1) | instskip(SKIP_3) | instid1(VALU_DEP_3)
	v_add_f32_e32 v38, v38, v53
	v_sub_f32_e32 v53, v37, v13
	v_dual_fmac_f32 v29, 0xbf68dda4, v52 :: v_dual_add_f32 v14, v14, v18
	v_mul_f32_e32 v15, 0xbe903f40, v67
	v_mul_f32_e32 v36, 0xbf4178ce, v53
	s_delay_alu instid0(VALU_DEP_2) | instskip(NEXT) | instid1(VALU_DEP_2)
	v_fmamk_f32 v17, v68, 0xbf75a155, v15
	v_fmamk_f32 v12, v61, 0xbf27a4f4, v36
	s_delay_alu instid0(VALU_DEP_1) | instskip(SKIP_1) | instid1(VALU_DEP_1)
	v_add_f32_e32 v12, v12, v16
	v_mul_f32_e32 v16, 0xbf27a4f4, v60
	v_fmamk_f32 v13, v64, 0x3f4178ce, v16
	s_delay_alu instid0(VALU_DEP_1) | instskip(NEXT) | instid1(VALU_DEP_4)
	v_dual_fmac_f32 v16, 0xbf4178ce, v64 :: v_dual_add_f32 v13, v13, v38
	v_add_f32_e32 v12, v17, v12
	v_mul_f32_e32 v17, 0xbf75a155, v48
	s_delay_alu instid0(VALU_DEP_1) | instskip(NEXT) | instid1(VALU_DEP_1)
	v_fmamk_f32 v19, v69, 0x3e903f40, v17
	v_add_f32_e32 v13, v19, v13
	v_add_f32_e32 v19, v29, v238
	s_delay_alu instid0(VALU_DEP_1) | instskip(SKIP_2) | instid1(VALU_DEP_3)
	v_add_f32_e32 v18, v28, v19
	v_fma_f32 v19, 0xbf27a4f4, v61, -v36
	v_mul_f32_e32 v28, 0x3e903f40, v54
	v_add_f32_e32 v16, v16, v18
	s_delay_alu instid0(VALU_DEP_3)
	v_add_f32_e32 v14, v19, v14
	v_fma_f32 v15, 0xbf75a155, v68, -v15
	v_mul_f32_e32 v18, 0xbf4178ce, v49
	v_fmamk_f32 v29, v58, 0xbf75a155, v28
	v_fmac_f32_e32 v17, 0xbe903f40, v69
	v_mul_f32_e32 v19, 0xbf27a4f4, v50
	s_delay_alu instid0(VALU_DEP_2) | instskip(SKIP_1) | instid1(VALU_DEP_3)
	v_dual_add_f32 v14, v15, v14 :: v_dual_add_f32 v15, v17, v16
	v_fmamk_f32 v16, v51, 0xbf27a4f4, v18
	v_fmamk_f32 v17, v52, 0x3f4178ce, v19
	v_fma_f32 v18, 0xbf27a4f4, v51, -v18
	s_delay_alu instid0(VALU_DEP_3) | instskip(NEXT) | instid1(VALU_DEP_2)
	v_dual_fmac_f32 v19, 0xbf4178ce, v52 :: v_dual_add_f32 v16, v16, v237
	v_dual_add_f32 v17, v17, v236 :: v_dual_add_f32 v18, v18, v235
	s_delay_alu instid0(VALU_DEP_2) | instskip(SKIP_1) | instid1(VALU_DEP_1)
	v_dual_add_f32 v19, v19, v234 :: v_dual_add_f32 v16, v29, v16
	v_mul_f32_e32 v29, 0xbf75a155, v55
	v_fmamk_f32 v36, v59, 0xbe903f40, v29
	s_delay_alu instid0(VALU_DEP_1) | instskip(SKIP_1) | instid1(VALU_DEP_1)
	v_add_f32_e32 v17, v36, v17
	v_mul_f32_e32 v36, 0x3f7d64f0, v53
	v_fmamk_f32 v37, v61, 0xbe11bafb, v36
	s_delay_alu instid0(VALU_DEP_1) | instskip(SKIP_1) | instid1(VALU_DEP_1)
	v_add_f32_e32 v16, v37, v16
	v_mul_f32_e32 v37, 0xbe11bafb, v60
	v_fmamk_f32 v38, v64, 0xbf7d64f0, v37
	s_delay_alu instid0(VALU_DEP_1) | instskip(SKIP_1) | instid1(VALU_DEP_2)
	v_dual_add_f32 v17, v38, v17 :: v_dual_mul_f32 v38, 0x3f0a6770, v67
	v_fma_f32 v28, 0xbf75a155, v58, -v28
	v_fmamk_f32 v39, v68, 0x3f575c64, v38
	s_delay_alu instid0(VALU_DEP_2) | instskip(SKIP_2) | instid1(VALU_DEP_4)
	v_add_f32_e32 v18, v28, v18
	v_fma_f32 v28, 0xbe11bafb, v61, -v36
	v_dual_fmac_f32 v29, 0x3e903f40, v59 :: v_dual_mul_f32 v36, 0x3e903f40, v49
	v_add_f32_e32 v16, v39, v16
	s_delay_alu instid0(VALU_DEP_3) | instskip(NEXT) | instid1(VALU_DEP_3)
	v_dual_mul_f32 v39, 0x3f575c64, v48 :: v_dual_add_f32 v18, v28, v18
	v_add_f32_e32 v19, v29, v19
	s_delay_alu instid0(VALU_DEP_2) | instskip(SKIP_3) | instid1(VALU_DEP_2)
	v_fmamk_f32 v70, v69, 0xbf0a6770, v39
	v_fmac_f32_e32 v39, 0x3f0a6770, v69
	v_fma_f32 v28, 0x3f575c64, v68, -v38
	v_mul_f32_e32 v38, 0x3f68dda4, v54
	v_add_f32_e32 v18, v28, v18
	v_fmamk_f32 v28, v51, 0xbf75a155, v36
	v_fma_f32 v36, 0xbf75a155, v51, -v36
	s_delay_alu instid0(VALU_DEP_1) | instskip(NEXT) | instid1(VALU_DEP_1)
	v_dual_fmac_f32 v37, 0x3f7d64f0, v64 :: v_dual_add_f32 v36, v36, v231
	v_add_f32_e32 v19, v37, v19
	s_delay_alu instid0(VALU_DEP_4) | instskip(NEXT) | instid1(VALU_DEP_2)
	v_dual_mul_f32 v37, 0xbf75a155, v50 :: v_dual_add_f32 v28, v28, v233
	v_add_f32_e32 v19, v39, v19
	v_fmamk_f32 v39, v58, 0x3ed4b147, v38
	s_delay_alu instid0(VALU_DEP_3) | instskip(SKIP_4) | instid1(VALU_DEP_4)
	v_fmamk_f32 v29, v52, 0xbe903f40, v37
	v_fma_f32 v38, 0x3ed4b147, v58, -v38
	v_add_f32_e32 v17, v70, v17
	v_fmac_f32_e32 v37, 0x3e903f40, v52
	v_dual_add_f32 v28, v39, v28 :: v_dual_mul_f32 v39, 0x3ed4b147, v55
	v_add_f32_e32 v36, v38, v36
	v_add_f32_e32 v29, v29, v232
	s_delay_alu instid0(VALU_DEP_3) | instskip(SKIP_1) | instid1(VALU_DEP_2)
	v_dual_add_f32 v37, v37, v230 :: v_dual_fmamk_f32 v70, v59, 0xbf68dda4, v39
	v_fmac_f32_e32 v39, 0x3f68dda4, v59
	v_add_f32_e32 v29, v70, v29
	v_mul_f32_e32 v70, 0xbf0a6770, v53
	s_delay_alu instid0(VALU_DEP_3) | instskip(NEXT) | instid1(VALU_DEP_2)
	v_add_f32_e32 v37, v39, v37
	v_fma_f32 v38, 0x3f575c64, v61, -v70
	v_fmamk_f32 v71, v61, 0x3f575c64, v70
	v_mul_f32_e32 v70, 0x3f7d64f0, v49
	s_delay_alu instid0(VALU_DEP_3) | instskip(NEXT) | instid1(VALU_DEP_3)
	v_dual_mul_f32 v49, 0x3f0a6770, v49 :: v_dual_add_f32 v36, v38, v36
	v_add_f32_e32 v28, v71, v28
	v_mul_f32_e32 v71, 0x3f575c64, v60
	s_delay_alu instid0(VALU_DEP_1) | instskip(NEXT) | instid1(VALU_DEP_1)
	v_fmamk_f32 v72, v64, 0x3f0a6770, v71
	v_dual_add_f32 v29, v72, v29 :: v_dual_mul_f32 v72, 0xbf4178ce, v67
	s_delay_alu instid0(VALU_DEP_1) | instskip(SKIP_3) | instid1(VALU_DEP_4)
	v_fma_f32 v38, 0xbf27a4f4, v68, -v72
	v_fmamk_f32 v73, v68, 0xbf27a4f4, v72
	v_mul_f32_e32 v72, 0xbf0a6770, v54
	v_mul_f32_e32 v54, 0xbf4178ce, v54
	v_add_f32_e32 v36, v38, v36
	s_delay_alu instid0(VALU_DEP_4) | instskip(SKIP_2) | instid1(VALU_DEP_2)
	v_add_f32_e32 v28, v73, v28
	v_mul_f32_e32 v73, 0xbf27a4f4, v48
	v_fmamk_f32 v38, v51, 0xbe11bafb, v70
	v_fmamk_f32 v74, v69, 0x3f4178ce, v73
	s_delay_alu instid0(VALU_DEP_2) | instskip(NEXT) | instid1(VALU_DEP_2)
	v_dual_add_f32 v38, v38, v229 :: v_dual_fmac_f32 v71, 0xbf0a6770, v64
	v_add_f32_e32 v29, v74, v29
	s_delay_alu instid0(VALU_DEP_2) | instskip(SKIP_2) | instid1(VALU_DEP_2)
	v_add_f32_e32 v37, v71, v37
	v_mul_f32_e32 v71, 0xbe11bafb, v50
	v_mul_f32_e32 v50, 0x3f575c64, v50
	v_fmamk_f32 v39, v52, 0xbf7d64f0, v71
	s_delay_alu instid0(VALU_DEP_1) | instskip(SKIP_1) | instid1(VALU_DEP_1)
	v_add_f32_e32 v39, v39, v228
	v_fma_f32 v70, 0xbe11bafb, v51, -v70
	v_dual_fmac_f32 v73, 0xbf4178ce, v69 :: v_dual_add_f32 v70, v70, v219
	s_delay_alu instid0(VALU_DEP_1) | instskip(SKIP_2) | instid1(VALU_DEP_1)
	v_add_f32_e32 v37, v73, v37
	v_fmamk_f32 v73, v58, 0x3f575c64, v72
	v_fma_f32 v72, 0x3f575c64, v58, -v72
	v_add_f32_e32 v70, v72, v70
	s_delay_alu instid0(VALU_DEP_3) | instskip(NEXT) | instid1(VALU_DEP_1)
	v_dual_add_f32 v38, v73, v38 :: v_dual_mul_f32 v73, 0x3f575c64, v55
	v_fmamk_f32 v74, v59, 0x3f0a6770, v73
	s_delay_alu instid0(VALU_DEP_1) | instskip(SKIP_1) | instid1(VALU_DEP_2)
	v_dual_add_f32 v39, v74, v39 :: v_dual_mul_f32 v74, 0xbe903f40, v53
	v_mul_f32_e32 v53, 0x3f68dda4, v53
	v_fma_f32 v72, 0xbf75a155, v61, -v74
	v_fmamk_f32 v75, v61, 0xbf75a155, v74
	v_fmamk_f32 v74, v58, 0xbf27a4f4, v54
	s_delay_alu instid0(VALU_DEP_3) | instskip(SKIP_1) | instid1(VALU_DEP_1)
	v_add_f32_e32 v70, v72, v70
	v_fmamk_f32 v72, v51, 0x3f575c64, v49
	v_dual_fmac_f32 v73, 0xbf0a6770, v59 :: v_dual_add_f32 v72, v72, v216
	v_fmac_f32_e32 v71, 0x3f7d64f0, v52
	s_delay_alu instid0(VALU_DEP_1) | instskip(NEXT) | instid1(VALU_DEP_1)
	v_dual_add_f32 v72, v74, v72 :: v_dual_add_f32 v71, v71, v218
	v_add_f32_e32 v71, v73, v71
	v_fmamk_f32 v73, v52, 0xbf0a6770, v50
	v_fmac_f32_e32 v50, 0x3f0a6770, v52
	v_fma_f32 v49, 0x3f575c64, v51, -v49
	v_fma_f32 v52, 0xbf27a4f4, v58, -v54
	v_mul_f32_e32 v51, 0xbf27a4f4, v55
	s_delay_alu instid0(VALU_DEP_4) | instskip(NEXT) | instid1(VALU_DEP_4)
	v_dual_add_f32 v73, v73, v217 :: v_dual_add_f32 v50, v50, v79
	v_add_f32_e32 v49, v49, v63
	v_fmamk_f32 v54, v61, 0x3ed4b147, v53
	s_delay_alu instid0(VALU_DEP_4) | instskip(SKIP_1) | instid1(VALU_DEP_3)
	v_fmamk_f32 v55, v59, 0x3f4178ce, v51
	v_fmac_f32_e32 v51, 0xbf4178ce, v59
	v_dual_add_f32 v49, v52, v49 :: v_dual_add_f32 v54, v54, v72
	v_dual_add_f32 v38, v75, v38 :: v_dual_mul_f32 v75, 0xbf75a155, v60
	v_fma_f32 v52, 0x3ed4b147, v61, -v53
	s_delay_alu instid0(VALU_DEP_4) | instskip(NEXT) | instid1(VALU_DEP_3)
	v_dual_add_f32 v50, v51, v50 :: v_dual_mul_f32 v53, 0x3ed4b147, v60
	v_dual_add_f32 v55, v55, v73 :: v_dual_fmamk_f32 v76, v64, 0x3e903f40, v75
	s_delay_alu instid0(VALU_DEP_3) | instskip(NEXT) | instid1(VALU_DEP_3)
	v_dual_add_f32 v52, v52, v49 :: v_dual_mul_f32 v49, 0xbf7d64f0, v67
	v_fmamk_f32 v58, v64, 0xbf68dda4, v53
	v_fmac_f32_e32 v53, 0x3f68dda4, v64
	s_delay_alu instid0(VALU_DEP_4) | instskip(SKIP_1) | instid1(VALU_DEP_4)
	v_add_f32_e32 v39, v76, v39
	v_mul_f32_e32 v76, 0x3f68dda4, v67
	v_add_f32_e32 v55, v58, v55
	s_delay_alu instid0(VALU_DEP_4) | instskip(NEXT) | instid1(VALU_DEP_3)
	v_dual_add_f32 v53, v53, v50 :: v_dual_fmamk_f32 v50, v68, 0xbe11bafb, v49
	v_fmamk_f32 v77, v68, 0x3ed4b147, v76
	v_fmac_f32_e32 v75, 0xbe903f40, v64
	v_mul_f32_e32 v58, 0xbe11bafb, v48
	v_fma_f32 v51, 0x3ed4b147, v68, -v76
	v_add_f32_e32 v50, v50, v54
	v_dual_add_f32 v38, v77, v38 :: v_dual_mul_f32 v77, 0x3ed4b147, v48
	s_delay_alu instid0(VALU_DEP_4) | instskip(SKIP_2) | instid1(VALU_DEP_4)
	v_dual_add_f32 v71, v75, v71 :: v_dual_fmamk_f32 v60, v69, 0x3f7d64f0, v58
	v_fmac_f32_e32 v58, 0xbf7d64f0, v69
	v_fma_f32 v59, 0xbe11bafb, v68, -v49
	v_fmamk_f32 v78, v69, 0xbf68dda4, v77
	v_dual_fmac_f32 v77, 0x3f68dda4, v69 :: v_dual_add_f32 v48, v51, v70
	s_delay_alu instid0(VALU_DEP_3) | instskip(NEXT) | instid1(VALU_DEP_3)
	v_dual_add_f32 v51, v60, v55 :: v_dual_add_f32 v52, v59, v52
	v_add_f32_e32 v39, v78, v39
	s_delay_alu instid0(VALU_DEP_3)
	v_add_f32_e32 v49, v77, v71
	v_add_f32_e32 v53, v58, v53
	s_waitcnt vmcnt(0)
	ds_store_2addr_b64 v0, v[46:47], v[12:13] offset1:7
	ds_store_2addr_b64 v0, v[16:17], v[28:29] offset0:14 offset1:21
	ds_store_2addr_b64 v0, v[38:39], v[50:51] offset0:28 offset1:35
	ds_store_2addr_b64 v0, v[52:53], v[48:49] offset0:42 offset1:49
	ds_store_2addr_b64 v0, v[36:37], v[18:19] offset0:56 offset1:63
	ds_store_b64 v0, v[14:15] offset:560
	s_and_saveexec_b32 s0, vcc_lo
	s_cbranch_execz .LBB0_9
; %bb.8:
	s_clause 0x6
	scratch_load_b128 v[6:9], off, off offset:556
	scratch_load_b64 v[10:11], off, off offset:20
	scratch_load_b128 v[2:5], off, off offset:540
	scratch_load_b128 v[35:38], off, off offset:28
	;; [unrolled: 1-line block ×5, first 2 shown]
	s_waitcnt vmcnt(4)
	v_dual_mul_f32 v12, v9, v11 :: v_dual_mul_f32 v1, v3, v210
	v_mul_f32_e32 v22, v3, v211
	s_waitcnt vmcnt(2)
	v_dual_mul_f32 v26, v5, v17 :: v_dual_mul_f32 v27, v7, v38
	s_delay_alu instid0(VALU_DEP_3) | instskip(SKIP_2) | instid1(VALU_DEP_4)
	v_fmac_f32_e32 v12, v8, v10
	v_fma_f32 v23, v2, v211, -v1
	v_mul_f32_e32 v1, v5, v16
	v_dual_fmac_f32 v26, v4, v16 :: v_dual_fmac_f32 v27, v6, v37
	s_delay_alu instid0(VALU_DEP_2) | instskip(SKIP_2) | instid1(VALU_DEP_1)
	v_fma_f32 v25, v4, v17, -v1
	scratch_load_b128 v[14:17], off, off offset:524 ; 16-byte Folded Reload
	v_fmac_f32_e32 v22, v2, v210
	v_dual_mul_f32 v0, v9, v10 :: v_dual_sub_f32 v3, v22, v12
	s_delay_alu instid0(VALU_DEP_1) | instskip(SKIP_2) | instid1(VALU_DEP_1)
	v_fma_f32 v13, v8, v11, -v0
	s_waitcnt vmcnt(0)
	v_dual_mul_f32 v0, v7, v37 :: v_dual_mul_f32 v1, v17, v35
	v_fma_f32 v24, v6, v38, -v0
	scratch_load_b128 v[6:9], off, off offset:508 ; 16-byte Folded Reload
	v_mul_f32_e32 v38, v15, v56
	v_mul_f32_e32 v33, v17, v36
	v_fma_f32 v30, v16, v36, -v1
	v_dual_add_f32 v21, v24, v25 :: v_dual_add_f32 v20, v13, v23
	v_mul_f32_e32 v1, v15, v55
	v_fmac_f32_e32 v38, v14, v55
	v_fmac_f32_e32 v33, v16, v35
	s_delay_alu instid0(VALU_DEP_4)
	v_mul_f32_e32 v29, 0x3f575c64, v21
	v_mul_f32_e32 v28, 0xbf75a155, v20
	v_fma_f32 v35, v14, v56, -v1
	scratch_load_b128 v[14:17], off, off offset:492 ; 16-byte Folded Reload
	v_dual_sub_f32 v2, v26, v27 :: v_dual_mul_f32 v69, 0xbf75a155, v21
	v_fmamk_f32 v0, v3, 0x3e903f40, v28
	s_delay_alu instid0(VALU_DEP_1) | instskip(SKIP_4) | instid1(VALU_DEP_3)
	v_dual_mul_f32 v79, 0xbf27a4f4, v21 :: v_dual_add_f32 v0, v209, v0
	s_waitcnt vmcnt(1)
	v_mul_f32_e32 v37, v9, v58
	v_dual_mul_f32 v4, v7, v18 :: v_dual_fmamk_f32 v5, v2, 0xbf0a6770, v29
	v_fmac_f32_e32 v29, 0x3f0a6770, v2
	v_fmac_f32_e32 v37, v8, v57
	s_delay_alu instid0(VALU_DEP_3) | instskip(SKIP_2) | instid1(VALU_DEP_3)
	v_fma_f32 v31, v6, v19, -v4
	v_mul_f32_e32 v4, v9, v57
	v_add_f32_e32 v0, v5, v0
	v_dual_mul_f32 v57, 0xbf27a4f4, v20 :: v_dual_add_f32 v34, v30, v31
	v_mul_f32_e32 v32, v7, v19
	s_delay_alu instid0(VALU_DEP_4)
	v_fma_f32 v36, v8, v58, -v4
	s_waitcnt vmcnt(0)
	v_mul_f32_e32 v7, v15, v59
	v_mul_f32_e32 v47, v15, v60
	;; [unrolled: 1-line block ×3, first 2 shown]
	v_fmac_f32_e32 v32, v6, v18
	v_sub_f32_e32 v5, v37, v38
	v_mul_f32_e32 v48, v17, v54
	v_dual_mul_f32 v6, v17, v53 :: v_dual_sub_f32 v51, v31, v30
	s_delay_alu instid0(VALU_DEP_4) | instskip(SKIP_1) | instid1(VALU_DEP_4)
	v_sub_f32_e32 v4, v32, v33
	v_fma_f32 v45, v14, v60, -v7
	v_dual_add_f32 v7, v27, v26 :: v_dual_fmac_f32 v48, v16, v53
	v_sub_f32_e32 v53, v36, v35
	s_delay_alu instid0(VALU_DEP_4) | instskip(SKIP_1) | instid1(VALU_DEP_2)
	v_dual_fmamk_f32 v1, v4, 0x3f4178ce, v39 :: v_dual_sub_f32 v46, v25, v24
	v_dual_sub_f32 v42, v23, v13 :: v_dual_fmac_f32 v47, v14, v59
	v_dual_mul_f32 v55, 0x3f68dda4, v53 :: v_dual_add_f32 v0, v1, v0
	s_delay_alu instid0(VALU_DEP_3) | instskip(SKIP_1) | instid1(VALU_DEP_4)
	v_dual_add_f32 v40, v35, v36 :: v_dual_mul_f32 v49, 0x3f0a6770, v46
	v_fma_f32 v43, v16, v54, -v6
	v_mul_f32_e32 v44, 0xbe903f40, v42
	v_mul_f32_e32 v59, 0xbe11bafb, v21
	s_delay_alu instid0(VALU_DEP_4)
	v_mul_f32_e32 v41, 0x3ed4b147, v40
	v_fmamk_f32 v10, v7, 0x3f575c64, v49
	v_add_f32_e32 v6, v12, v22
	v_dual_sub_f32 v56, v45, v43 :: v_dual_mul_f32 v61, 0x3f575c64, v34
	v_fmamk_f32 v17, v2, 0xbf7d64f0, v59
	v_fmamk_f32 v1, v5, 0xbf68dda4, v41
	s_delay_alu instid0(VALU_DEP_4) | instskip(NEXT) | instid1(VALU_DEP_4)
	v_fmamk_f32 v8, v6, 0xbf75a155, v44
	v_mul_f32_e32 v58, 0xbf7d64f0, v56
	v_mul_f32_e32 v73, 0x3e903f40, v46
	v_add_f32_e32 v23, v23, v209
	s_delay_alu instid0(VALU_DEP_4) | instskip(SKIP_1) | instid1(VALU_DEP_3)
	v_dual_fmamk_f32 v16, v3, 0x3f4178ce, v57 :: v_dual_add_f32 v9, v208, v8
	v_add_f32_e32 v8, v33, v32
	v_dual_fmamk_f32 v18, v7, 0xbf75a155, v73 :: v_dual_add_f32 v23, v25, v23
	s_delay_alu instid0(VALU_DEP_3) | instskip(SKIP_4) | instid1(VALU_DEP_4)
	v_dual_mul_f32 v62, 0x3f7d64f0, v46 :: v_dual_add_f32 v11, v10, v9
	v_dual_sub_f32 v9, v47, v48 :: v_dual_add_f32 v10, v38, v37
	v_add_f32_e32 v50, v43, v45
	v_add_f32_e32 v0, v1, v0
	v_dual_add_f32 v16, v209, v16 :: v_dual_mul_f32 v65, 0xbe903f40, v53
	v_fmamk_f32 v15, v10, 0x3ed4b147, v55
	s_delay_alu instid0(VALU_DEP_4) | instskip(SKIP_3) | instid1(VALU_DEP_4)
	v_mul_f32_e32 v54, 0xbe11bafb, v50
	v_mul_f32_e32 v63, 0xbf75a155, v40
	v_dual_mul_f32 v64, 0xbf0a6770, v51 :: v_dual_mul_f32 v75, 0xbf0a6770, v53
	v_mul_f32_e32 v67, 0x3f68dda4, v56
	v_fmamk_f32 v1, v9, 0x3f7d64f0, v54
	v_dual_mul_f32 v52, 0xbf4178ce, v51 :: v_dual_mul_f32 v103, 0xbf4178ce, v46
	v_mul_f32_e32 v76, 0xbf27a4f4, v50
	s_delay_alu instid0(VALU_DEP_3) | instskip(NEXT) | instid1(VALU_DEP_3)
	v_dual_mul_f32 v102, 0xbf68dda4, v42 :: v_dual_add_f32 v1, v1, v0
	v_fmamk_f32 v14, v8, 0xbf27a4f4, v52
	v_mul_f32_e32 v66, 0x3ed4b147, v50
	v_fmamk_f32 v113, v7, 0xbf27a4f4, v103
	v_mul_f32_e32 v101, 0xbe11bafb, v40
	v_mul_f32_e32 v72, 0xbf7d64f0, v42
	v_add_f32_e32 v14, v14, v11
	v_dual_add_f32 v11, v48, v47 :: v_dual_mul_f32 v68, 0xbe11bafb, v20
	v_mul_f32_e32 v71, 0x3f575c64, v40
	v_mul_f32_e32 v70, 0x3ed4b147, v34
	s_delay_alu instid0(VALU_DEP_4) | instskip(NEXT) | instid1(VALU_DEP_4)
	v_add_f32_e32 v14, v15, v14
	v_fmamk_f32 v15, v11, 0xbe11bafb, v58
	v_fmamk_f32 v19, v2, 0x3f4178ce, v79
	v_mul_f32_e32 v100, 0xbf75a155, v34
	v_mul_f32_e32 v74, 0x3f68dda4, v51
	;; [unrolled: 1-line block ×3, first 2 shown]
	v_dual_add_f32 v0, v15, v14 :: v_dual_add_f32 v15, v17, v16
	v_fmamk_f32 v16, v4, 0x3f0a6770, v61
	v_fmamk_f32 v17, v7, 0xbe11bafb, v62
	s_delay_alu instid0(VALU_DEP_4) | instskip(SKIP_1) | instid1(VALU_DEP_4)
	v_dual_mul_f32 v78, 0x3ed4b147, v20 :: v_dual_fmamk_f32 v123, v7, 0x3ed4b147, v46
	v_mul_f32_e32 v77, 0xbf4178ce, v56
	v_dual_add_f32 v15, v16, v15 :: v_dual_fmamk_f32 v16, v5, 0x3e903f40, v63
	v_mul_f32_e32 v60, 0xbf4178ce, v42
	v_dual_mul_f32 v122, 0x3ed4b147, v21 :: v_dual_add_f32 v23, v31, v23
	s_delay_alu instid0(VALU_DEP_3) | instskip(NEXT) | instid1(VALU_DEP_3)
	v_dual_mul_f32 v34, 0xbe11bafb, v34 :: v_dual_add_f32 v15, v16, v15
	v_fmamk_f32 v14, v6, 0xbf27a4f4, v60
	s_delay_alu instid0(VALU_DEP_3) | instskip(SKIP_1) | instid1(VALU_DEP_3)
	v_dual_fmamk_f32 v16, v10, 0xbf75a155, v65 :: v_dual_add_f32 v23, v36, v23
	v_mul_f32_e32 v121, 0x3f0a6770, v56
	v_dual_fmamk_f32 v21, v2, 0x3f68dda4, v122 :: v_dual_add_f32 v14, v208, v14
	s_delay_alu instid0(VALU_DEP_3) | instskip(SKIP_1) | instid1(VALU_DEP_3)
	v_dual_add_f32 v22, v208, v22 :: v_dual_add_f32 v23, v45, v23
	v_fmac_f32_e32 v39, 0xbf4178ce, v4
	v_dual_fmac_f32 v41, 0x3f68dda4, v5 :: v_dual_add_f32 v14, v17, v14
	v_fmamk_f32 v17, v8, 0x3f575c64, v64
	s_delay_alu instid0(VALU_DEP_4) | instskip(SKIP_1) | instid1(VALU_DEP_3)
	v_dual_add_f32 v23, v43, v23 :: v_dual_mul_f32 v42, 0xbf0a6770, v42
	v_dual_add_f32 v22, v26, v22 :: v_dual_fmac_f32 v57, 0xbf4178ce, v3
	v_dual_add_f32 v14, v17, v14 :: v_dual_fmamk_f32 v17, v2, 0xbe903f40, v69
	s_delay_alu instid0(VALU_DEP_3) | instskip(NEXT) | instid1(VALU_DEP_3)
	v_dual_add_f32 v23, v35, v23 :: v_dual_mul_f32 v120, 0x3f575c64, v50
	v_add_f32_e32 v22, v32, v22
	s_delay_alu instid0(VALU_DEP_3) | instskip(NEXT) | instid1(VALU_DEP_3)
	v_add_f32_e32 v14, v16, v14
	v_dual_fmamk_f32 v16, v9, 0xbf68dda4, v66 :: v_dual_add_f32 v23, v30, v23
	v_fmac_f32_e32 v59, 0x3f7d64f0, v2
	s_delay_alu instid0(VALU_DEP_4) | instskip(SKIP_1) | instid1(VALU_DEP_4)
	v_add_f32_e32 v22, v37, v22
	v_fmac_f32_e32 v69, 0x3e903f40, v2
	v_dual_add_f32 v15, v16, v15 :: v_dual_fmamk_f32 v16, v11, 0x3ed4b147, v67
	v_add_f32_e32 v23, v24, v23
	v_fma_f32 v24, 0x3f575c64, v7, -v49
	v_dual_add_f32 v22, v47, v22 :: v_dual_fmac_f32 v61, 0xbf0a6770, v4
	s_delay_alu instid0(VALU_DEP_4) | instskip(NEXT) | instid1(VALU_DEP_4)
	v_add_f32_e32 v14, v16, v14
	v_dual_fmamk_f32 v16, v3, 0x3f7d64f0, v68 :: v_dual_add_f32 v13, v13, v23
	v_fma_f32 v23, 0xbf75a155, v6, -v44
	v_mul_f32_e32 v50, 0xbf75a155, v50
	v_add_f32_e32 v22, v48, v22
	s_delay_alu instid0(VALU_DEP_4) | instskip(NEXT) | instid1(VALU_DEP_4)
	v_dual_add_f32 v16, v209, v16 :: v_dual_fmac_f32 v63, 0xbe903f40, v5
	v_dual_add_f32 v23, v208, v23 :: v_dual_mul_f32 v56, 0xbe903f40, v56
	s_delay_alu instid0(VALU_DEP_3) | instskip(NEXT) | instid1(VALU_DEP_3)
	v_add_f32_e32 v22, v38, v22
	v_dual_add_f32 v16, v17, v16 :: v_dual_fmamk_f32 v17, v4, 0xbf68dda4, v70
	s_delay_alu instid0(VALU_DEP_3) | instskip(SKIP_1) | instid1(VALU_DEP_3)
	v_add_f32_e32 v23, v24, v23
	v_fma_f32 v24, 0xbf27a4f4, v8, -v52
	v_dual_fmac_f32 v79, 0xbf4178ce, v2 :: v_dual_add_f32 v16, v17, v16
	v_fmamk_f32 v17, v5, 0x3f0a6770, v71
	s_delay_alu instid0(VALU_DEP_3) | instskip(SKIP_1) | instid1(VALU_DEP_3)
	v_add_f32_e32 v23, v24, v23
	v_fma_f32 v24, 0x3ed4b147, v10, -v55
	v_dual_fmac_f32 v71, 0xbf0a6770, v5 :: v_dual_add_f32 v16, v17, v16
	s_delay_alu instid0(VALU_DEP_2) | instskip(SKIP_1) | instid1(VALU_DEP_2)
	v_dual_fmamk_f32 v17, v6, 0xbe11bafb, v72 :: v_dual_add_f32 v24, v24, v23
	v_add_f32_e32 v23, v209, v57
	v_dual_add_f32 v22, v33, v22 :: v_dual_add_f32 v17, v208, v17
	s_delay_alu instid0(VALU_DEP_2) | instskip(SKIP_1) | instid1(VALU_DEP_3)
	v_add_f32_e32 v25, v59, v23
	v_fma_f32 v23, 0xbf27a4f4, v6, -v60
	v_dual_add_f32 v22, v27, v22 :: v_dual_add_f32 v17, v18, v17
	v_fmamk_f32 v18, v8, 0x3ed4b147, v74
	v_fma_f32 v26, 0xbe11bafb, v7, -v62
	s_delay_alu instid0(VALU_DEP_4) | instskip(NEXT) | instid1(VALU_DEP_4)
	v_add_f32_e32 v23, v208, v23
	v_add_f32_e32 v12, v12, v22
	v_fma_f32 v27, 0xbe11bafb, v11, -v58
	v_add_f32_e32 v17, v18, v17
	v_fmamk_f32 v18, v10, 0x3f575c64, v75
	v_add_f32_e32 v26, v26, v23
	v_fmac_f32_e32 v54, 0xbf7d64f0, v9
	v_fmac_f32_e32 v28, 0xbe903f40, v3
	s_delay_alu instid0(VALU_DEP_4) | instskip(SKIP_1) | instid1(VALU_DEP_3)
	v_dual_add_f32 v18, v18, v17 :: v_dual_fmamk_f32 v17, v9, 0x3f4178ce, v76
	v_fma_f32 v30, 0xbf75a155, v7, -v73
	v_add_f32_e32 v22, v209, v28
	v_fmac_f32_e32 v68, 0xbf7d64f0, v3
	v_fma_f32 v28, 0x3f575c64, v8, -v64
	v_dual_add_f32 v17, v17, v16 :: v_dual_fmamk_f32 v16, v11, 0xbf27a4f4, v77
	s_delay_alu instid0(VALU_DEP_4) | instskip(SKIP_2) | instid1(VALU_DEP_4)
	v_add_f32_e32 v22, v29, v22
	v_fmac_f32_e32 v76, 0xbf4178ce, v9
	v_fma_f32 v29, 0x3ed4b147, v11, -v67
	v_add_f32_e32 v16, v16, v18
	v_fmamk_f32 v18, v3, 0x3f68dda4, v78
	v_add_f32_e32 v22, v39, v22
	v_fmac_f32_e32 v78, 0xbf68dda4, v3
	s_delay_alu instid0(VALU_DEP_3) | instskip(NEXT) | instid1(VALU_DEP_1)
	v_add_f32_e32 v18, v209, v18
	v_dual_add_f32 v18, v19, v18 :: v_dual_fmamk_f32 v19, v4, 0xbe903f40, v100
	s_delay_alu instid0(VALU_DEP_1) | instskip(NEXT) | instid1(VALU_DEP_1)
	v_dual_add_f32 v18, v19, v18 :: v_dual_fmamk_f32 v19, v5, 0xbf7d64f0, v101
	v_dual_add_f32 v18, v19, v18 :: v_dual_fmamk_f32 v19, v6, 0x3ed4b147, v102
	v_fmac_f32_e32 v66, 0x3f68dda4, v9
	v_dual_add_f32 v22, v41, v22 :: v_dual_fmac_f32 v101, 0x3f7d64f0, v5
	s_delay_alu instid0(VALU_DEP_3) | instskip(NEXT) | instid1(VALU_DEP_2)
	v_add_f32_e32 v19, v208, v19
	v_dual_add_f32 v23, v54, v22 :: v_dual_add_f32 v22, v27, v24
	v_add_f32_e32 v24, v61, v25
	s_delay_alu instid0(VALU_DEP_3)
	v_add_f32_e32 v19, v113, v19
	v_mul_f32_e32 v113, 0x3e903f40, v51
	v_mul_f32_e32 v51, 0xbf7d64f0, v51
	v_add_f32_e32 v25, v28, v26
	v_fma_f32 v26, 0xbf75a155, v10, -v65
	v_add_f32_e32 v24, v63, v24
	v_dual_fmamk_f32 v114, v8, 0xbf75a155, v113 :: v_dual_add_f32 v27, v209, v68
	v_fma_f32 v28, 0xbe11bafb, v6, -v72
	s_delay_alu instid0(VALU_DEP_2) | instskip(SKIP_1) | instid1(VALU_DEP_4)
	v_dual_add_f32 v19, v114, v19 :: v_dual_mul_f32 v114, 0x3f7d64f0, v53
	v_mul_f32_e32 v53, 0xbf4178ce, v53
	v_dual_mul_f32 v40, 0xbf27a4f4, v40 :: v_dual_add_f32 v27, v69, v27
	s_delay_alu instid0(VALU_DEP_3) | instskip(NEXT) | instid1(VALU_DEP_1)
	v_dual_add_f32 v28, v208, v28 :: v_dual_fmamk_f32 v115, v10, 0xbe11bafb, v114
	v_add_f32_e32 v115, v115, v19
	v_fmamk_f32 v19, v9, 0xbf0a6770, v120
	s_delay_alu instid0(VALU_DEP_1) | instskip(SKIP_1) | instid1(VALU_DEP_1)
	v_add_f32_e32 v19, v19, v18
	v_fmamk_f32 v18, v11, 0x3f575c64, v121
	v_dual_add_f32 v18, v18, v115 :: v_dual_mul_f32 v115, 0x3f575c64, v20
	v_add_f32_e32 v26, v26, v25
	v_fma_f32 v32, 0xbf27a4f4, v7, -v103
	s_delay_alu instid0(VALU_DEP_3) | instskip(NEXT) | instid1(VALU_DEP_1)
	v_dual_add_f32 v25, v66, v24 :: v_dual_fmamk_f32 v20, v3, 0x3f0a6770, v115
	v_dual_fmac_f32 v115, 0xbf0a6770, v3 :: v_dual_add_f32 v20, v209, v20
	s_delay_alu instid0(VALU_DEP_1) | instskip(NEXT) | instid1(VALU_DEP_1)
	v_dual_add_f32 v20, v21, v20 :: v_dual_fmamk_f32 v21, v4, 0x3f7d64f0, v34
	v_add_f32_e32 v20, v21, v20
	v_fmamk_f32 v21, v5, 0x3f4178ce, v40
	s_delay_alu instid0(VALU_DEP_1) | instskip(SKIP_1) | instid1(VALU_DEP_2)
	v_dual_add_f32 v20, v21, v20 :: v_dual_fmamk_f32 v21, v6, 0x3f575c64, v42
	v_fmac_f32_e32 v120, 0x3f0a6770, v9
	v_add_f32_e32 v21, v208, v21
	s_delay_alu instid0(VALU_DEP_1) | instskip(SKIP_1) | instid1(VALU_DEP_1)
	v_add_f32_e32 v21, v123, v21
	v_fmamk_f32 v123, v8, 0xbe11bafb, v51
	v_dual_fmac_f32 v34, 0xbf7d64f0, v4 :: v_dual_add_f32 v21, v123, v21
	v_fmamk_f32 v123, v10, 0xbf27a4f4, v53
	v_fmac_f32_e32 v100, 0x3e903f40, v4
	v_add_f32_e32 v24, v29, v26
	v_dual_add_f32 v29, v209, v78 :: v_dual_fmac_f32 v70, 0x3f68dda4, v4
	s_delay_alu instid0(VALU_DEP_4) | instskip(SKIP_4) | instid1(VALU_DEP_4)
	v_add_f32_e32 v123, v123, v21
	v_fmamk_f32 v21, v9, 0x3e903f40, v50
	v_fmac_f32_e32 v50, 0xbe903f40, v9
	v_fmac_f32_e32 v122, 0xbf68dda4, v2
	v_fma_f32 v4, 0xbe11bafb, v8, -v51
	v_dual_fmac_f32 v40, 0xbf4178ce, v5 :: v_dual_add_f32 v21, v21, v20
	v_fmamk_f32 v20, v11, 0xbf75a155, v56
	v_fma_f32 v5, 0x3f575c64, v11, -v121
	v_fma_f32 v9, 0xbf75a155, v11, -v56
	s_delay_alu instid0(VALU_DEP_3) | instskip(NEXT) | instid1(VALU_DEP_1)
	v_dual_add_f32 v29, v79, v29 :: v_dual_add_f32 v20, v20, v123
	v_dual_add_f32 v29, v100, v29 :: v_dual_add_f32 v26, v70, v27
	v_add_f32_e32 v27, v30, v28
	v_fma_f32 v28, 0x3ed4b147, v8, -v74
	v_fma_f32 v30, 0x3f575c64, v10, -v75
	s_delay_alu instid0(VALU_DEP_4)
	v_add_f32_e32 v3, v101, v29
	v_fma_f32 v29, 0xbf75a155, v8, -v113
	v_add_f32_e32 v26, v71, v26
	v_add_f32_e32 v28, v28, v27
	scratch_load_b32 v8, off, off offset:456 ; 4-byte Folded Reload
	v_add_f32_e32 v3, v120, v3
	v_add_f32_e32 v27, v76, v26
	v_fma_f32 v26, 0x3ed4b147, v6, -v102
	v_fma_f32 v6, 0x3f575c64, v6, -v42
	v_add_f32_e32 v28, v30, v28
	v_fma_f32 v30, 0xbf27a4f4, v11, -v77
	s_delay_alu instid0(VALU_DEP_4) | instskip(NEXT) | instid1(VALU_DEP_4)
	v_add_f32_e32 v31, v208, v26
	v_add_f32_e32 v2, v208, v6
	v_fma_f32 v6, 0x3ed4b147, v7, -v46
	s_delay_alu instid0(VALU_DEP_4) | instskip(SKIP_2) | instid1(VALU_DEP_1)
	v_add_f32_e32 v26, v30, v28
	v_add_f32_e32 v30, v209, v115
	;; [unrolled: 1-line block ×3, first 2 shown]
	v_dual_add_f32 v2, v6, v2 :: v_dual_add_f32 v7, v29, v28
	v_fma_f32 v28, 0xbe11bafb, v10, -v114
	s_delay_alu instid0(VALU_DEP_2) | instskip(SKIP_1) | instid1(VALU_DEP_3)
	v_add_f32_e32 v2, v4, v2
	v_fma_f32 v4, 0xbf27a4f4, v10, -v53
	v_dual_add_f32 v29, v122, v30 :: v_dual_add_f32 v6, v28, v7
	s_delay_alu instid0(VALU_DEP_2) | instskip(SKIP_2) | instid1(VALU_DEP_1)
	v_add_f32_e32 v4, v4, v2
	scratch_load_b32 v2, off, off offset:364 ; 4-byte Folded Reload
	v_dual_add_f32 v7, v34, v29 :: v_dual_add_f32 v4, v9, v4
	v_add_f32_e32 v7, v40, v7
	s_waitcnt vmcnt(1)
	v_mul_u32_u24_e32 v8, 0x4d, v8
	s_waitcnt vmcnt(0)
	s_delay_alu instid0(VALU_DEP_1)
	v_add_lshl_u32 v8, v8, v2, 3
	v_dual_add_f32 v2, v5, v6 :: v_dual_add_f32 v5, v50, v7
	ds_store_2addr_b64 v8, v[12:13], v[20:21] offset1:7
	ds_store_2addr_b64 v8, v[18:19], v[16:17] offset0:14 offset1:21
	ds_store_2addr_b64 v8, v[14:15], v[0:1] offset0:28 offset1:35
	ds_store_2addr_b64 v8, v[22:23], v[24:25] offset0:42 offset1:49
	ds_store_2addr_b64 v8, v[26:27], v[2:3] offset0:56 offset1:63
	ds_store_b64 v8, v[4:5] offset:560
.LBB0_9:
	s_or_b32 exec_lo, exec_lo, s0
	v_add_nc_u32_e32 v39, 0x800, v112
	s_waitcnt lgkmcnt(0)
	s_barrier
	buffer_gl0_inv
	v_add_nc_u32_e32 v45, 0x1800, v112
	ds_load_2addr_b64 v[0:3], v39 offset0:74 offset1:129
	v_add_nc_u32_e32 v41, 0x2000, v112
	v_add_nc_u32_e32 v38, 0x3000, v112
	s_mov_b32 s0, 0xebc93598
	s_mov_b32 s1, 0x3f4105b7
	s_waitcnt lgkmcnt(0)
	v_mul_f32_e32 v37, v81, v2
	ds_load_2addr_b64 v[12:15], v45 offset0:2 offset1:57
	ds_load_2addr_b64 v[16:19], v41 offset0:76 offset1:131
	ds_load_2addr_b64 v[20:23], v38 offset0:4 offset1:59
	ds_load_2addr_b64 v[8:11], v112 offset1:55
	ds_load_2addr_b64 v[4:7], v112 offset0:110 offset1:165
	v_dual_mul_f32 v36, v81, v3 :: v_dual_add_nc_u32 v43, 0x1000, v112
	v_add_nc_u32_e32 v44, 0x2800, v112
	v_fma_f32 v37, v80, v3, -v37
	s_waitcnt lgkmcnt(3)
	v_dual_mul_f32 v74, v83, v13 :: v_dual_mul_f32 v75, v93, v19
	v_mul_f32_e32 v42, v93, v18
	s_waitcnt lgkmcnt(2)
	v_mul_f32_e32 v76, v95, v21
	ds_load_2addr_b64 v[24:27], v39 offset0:184 offset1:239
	ds_load_2addr_b64 v[28:31], v41 offset0:186 offset1:241
	;; [unrolled: 1-line block ×5, first 2 shown]
	v_fmac_f32_e32 v36, v80, v2
	v_mul_f32_e32 v2, v95, v20
	v_dual_mul_f32 v40, v83, v12 :: v_dual_fmac_f32 v75, v92, v18
	v_mul_f32_e32 v80, v91, v15
	v_fmac_f32_e32 v74, v82, v12
	s_delay_alu instid0(VALU_DEP_4) | instskip(NEXT) | instid1(VALU_DEP_4)
	v_fma_f32 v79, v94, v21, -v2
	v_fma_f32 v77, v82, v13, -v40
	v_fmac_f32_e32 v76, v94, v20
	v_add_nc_u32_e32 v40, 0x1c00, v112
	v_fma_f32 v78, v92, v19, -v42
	ds_load_2addr_b64 v[55:58], v44 offset0:40 offset1:95
	s_waitcnt lgkmcnt(5)
	v_dual_mul_f32 v81, v89, v25 :: v_dual_mul_f32 v2, v91, v14
	v_dual_mul_f32 v3, v89, v24 :: v_dual_fmac_f32 v80, v90, v14
	s_waitcnt lgkmcnt(2)
	v_mul_f32_e32 v93, v147, v48
	s_delay_alu instid0(VALU_DEP_3)
	v_fmac_f32_e32 v81, v88, v24
	v_fma_f32 v82, v90, v15, -v2
	v_fma_f32 v83, v88, v25, -v3
	v_mul_f32_e32 v88, v87, v23
	v_dual_mul_f32 v2, v87, v22 :: v_dual_fmac_f32 v93, v146, v47
	v_mul_f32_e32 v87, v85, v29
	v_mul_f32_e32 v3, v85, v28
	;; [unrolled: 1-line block ×3, first 2 shown]
	s_delay_alu instid0(VALU_DEP_4) | instskip(NEXT) | instid1(VALU_DEP_4)
	v_fma_f32 v85, v86, v23, -v2
	v_dual_mul_f32 v2, v149, v26 :: v_dual_fmac_f32 v87, v84, v28
	s_delay_alu instid0(VALU_DEP_4) | instskip(NEXT) | instid1(VALU_DEP_4)
	v_fma_f32 v84, v84, v29, -v3
	v_fmac_f32_e32 v101, v138, v49
	v_mul_f32_e32 v3, v145, v30
	v_fmac_f32_e32 v88, v86, v22
	v_mul_f32_e32 v86, v149, v27
	v_fma_f32 v89, v148, v27, -v2
	s_waitcnt lgkmcnt(1)
	v_dual_mul_f32 v90, v151, v33 :: v_dual_mul_f32 v69, v133, v54
	v_fma_f32 v94, v144, v31, -v3
	v_mul_f32_e32 v3, v143, v34
	ds_load_2addr_b64 v[18:21], v40 offset0:94 offset1:149
	v_add_nc_u32_e32 v42, 0x3400, v112
	v_dual_mul_f32 v2, v151, v32 :: v_dual_fmac_f32 v69, v132, v53
	v_fma_f32 v71, v142, v35, -v3
	v_mul_f32_e32 v3, v139, v49
	v_dual_mul_f32 v91, v145, v31 :: v_dual_add_nc_u32 v46, 0x400, v112
	v_mul_f32_e32 v72, v143, v35
	v_fmac_f32_e32 v86, v148, v26
	ds_load_2addr_b64 v[26:29], v43 offset0:148 offset1:203
	v_fma_f32 v103, v138, v50, -v3
	v_fma_f32 v92, v150, v33, -v2
	v_fmac_f32_e32 v91, v144, v30
	ds_load_2addr_b64 v[12:15], v46 offset0:92 offset1:147
	v_dual_fmac_f32 v72, v142, v34 :: v_dual_mul_f32 v49, v107, v17
	s_waitcnt lgkmcnt(3)
	v_mul_f32_e32 v66, v129, v58
	s_waitcnt lgkmcnt(2)
	v_dual_mul_f32 v100, v141, v52 :: v_dual_mul_f32 v3, v135, v18
	ds_load_2addr_b64 v[22:25], v42 offset0:96 offset1:151
	v_fmac_f32_e32 v90, v150, v32
	ds_load_2addr_b64 v[30:33], v44 offset0:150 offset1:205
	ds_load_b64 v[34:35], v112 offset:14960
	v_mul_f32_e32 v65, v135, v19
	v_mul_f32_e32 v2, v147, v47
	v_fma_f32 v64, v134, v19, -v3
	v_fmac_f32_e32 v49, v106, v16
	v_sub_f32_e32 v19, v77, v78
	v_fmac_f32_e32 v65, v134, v18
	v_fma_f32 v95, v146, v48, -v2
	v_mul_f32_e32 v2, v141, v51
	s_waitcnt lgkmcnt(4)
	v_mul_f32_e32 v18, v117, v26
	v_fmac_f32_e32 v66, v128, v57
	v_mul_f32_e32 v50, v105, v29
	s_waitcnt lgkmcnt(0)
	v_fma_f32 v73, v140, v52, -v2
	v_mul_f32_e32 v2, v137, v55
	s_barrier
	buffer_gl0_inv
	v_mul_f32_e32 v70, v131, v23
	v_fma_f32 v113, v136, v56, -v2
	v_dual_mul_f32 v2, v133, v53 :: v_dual_mul_f32 v3, v131, v22
	v_mul_f32_e32 v59, v109, v31
	v_mul_f32_e32 v102, v137, v56
	v_fmac_f32_e32 v70, v130, v22
	s_delay_alu instid0(VALU_DEP_4)
	v_fma_f32 v63, v132, v54, -v2
	v_fma_f32 v68, v130, v23, -v3
	v_mul_f32_e32 v3, v109, v30
	v_fmac_f32_e32 v59, v108, v30
	v_fmac_f32_e32 v102, v136, v55
	v_fma_f32 v55, v116, v27, -v18
	v_mul_f32_e32 v18, v107, v16
	v_add_f32_e32 v16, v8, v36
	v_mul_f32_e32 v2, v129, v57
	v_mul_f32_e32 v22, v99, v34
	v_dual_mul_f32 v57, v119, v21 :: v_dual_fmac_f32 v100, v140, v51
	v_mul_f32_e32 v62, v111, v25
	s_delay_alu instid0(VALU_DEP_4)
	v_fma_f32 v67, v128, v58, -v2
	v_fma_f32 v58, v108, v31, -v3
	v_mul_f32_e32 v3, v105, v28
	v_fma_f32 v53, v98, v35, -v22
	v_add_f32_e32 v22, v9, v37
	v_mul_f32_e32 v2, v119, v20
	v_fmac_f32_e32 v57, v118, v20
	v_fma_f32 v47, v104, v29, -v3
	v_mul_f32_e32 v3, v97, v32
	v_fma_f32 v48, v106, v17, -v18
	v_fma_f32 v56, v118, v21, -v2
	v_dual_mul_f32 v2, v111, v24 :: v_dual_sub_f32 v17, v37, v79
	s_delay_alu instid0(VALU_DEP_4) | instskip(SKIP_2) | instid1(VALU_DEP_4)
	v_fma_f32 v51, v96, v33, -v3
	v_add_f32_e32 v3, v16, v74
	v_sub_f32_e32 v18, v36, v74
	v_fma_f32 v61, v110, v25, -v2
	v_dual_sub_f32 v25, v36, v76 :: v_dual_add_f32 v2, v74, v75
	v_sub_f32_e32 v20, v76, v75
	v_dual_mul_f32 v60, v117, v27 :: v_dual_add_f32 v21, v36, v76
	v_add_f32_e32 v3, v3, v75
	s_delay_alu instid0(VALU_DEP_4) | instskip(NEXT) | instid1(VALU_DEP_3)
	v_fma_f32 v2, -0.5, v2, v8
	v_dual_add_f32 v23, v18, v20 :: v_dual_fmac_f32 v60, v116, v26
	s_delay_alu instid0(VALU_DEP_4) | instskip(NEXT) | instid1(VALU_DEP_4)
	v_fma_f32 v8, -0.5, v21, v8
	v_add_f32_e32 v20, v3, v76
	s_delay_alu instid0(VALU_DEP_4)
	v_fmamk_f32 v16, v17, 0xbf737871, v2
	v_dual_fmac_f32 v2, 0x3f737871, v17 :: v_dual_sub_f32 v3, v74, v36
	v_sub_f32_e32 v21, v75, v76
	v_fmac_f32_e32 v62, v110, v24
	v_add_f32_e32 v24, v77, v78
	v_fmac_f32_e32 v16, 0xbf167918, v19
	v_dual_fmamk_f32 v18, v19, 0x3f737871, v8 :: v_dual_add_f32 v31, v81, v88
	v_dual_add_f32 v21, v3, v21 :: v_dual_fmac_f32 v8, 0xbf737871, v19
	s_delay_alu instid0(VALU_DEP_4)
	v_fma_f32 v3, -0.5, v24, v9
	v_sub_f32_e32 v24, v37, v77
	v_sub_f32_e32 v26, v79, v78
	;; [unrolled: 1-line block ×3, first 2 shown]
	v_dual_fmac_f32 v2, 0x3f167918, v19 :: v_dual_add_f32 v19, v22, v77
	v_add_f32_e32 v22, v37, v79
	v_fmac_f32_e32 v50, v104, v28
	v_dual_fmac_f32 v16, 0x3e9e377a, v23 :: v_dual_sub_f32 v29, v82, v84
	s_delay_alu instid0(VALU_DEP_4) | instskip(NEXT) | instid1(VALU_DEP_4)
	v_dual_add_f32 v19, v19, v78 :: v_dual_mul_f32 v52, v97, v33
	v_fma_f32 v9, -0.5, v22, v9
	v_dual_sub_f32 v22, v77, v37 :: v_dual_sub_f32 v33, v83, v82
	v_add_f32_e32 v24, v24, v26
	v_sub_f32_e32 v26, v78, v79
	v_fmac_f32_e32 v18, 0xbf167918, v17
	v_fmac_f32_e32 v8, 0x3f167918, v17
	v_fmamk_f32 v17, v25, 0x3f737871, v3
	s_delay_alu instid0(VALU_DEP_4) | instskip(SKIP_4) | instid1(VALU_DEP_3)
	v_dual_fmac_f32 v3, 0xbf737871, v25 :: v_dual_add_f32 v26, v22, v26
	v_fmac_f32_e32 v2, 0x3e9e377a, v23
	v_sub_f32_e32 v23, v74, v75
	v_dual_add_f32 v27, v80, v87 :: v_dual_add_f32 v28, v10, v81
	v_dual_add_f32 v36, v4, v86 :: v_dual_sub_f32 v77, v89, v92
	v_fmac_f32_e32 v17, 0x3f167918, v23
	v_mul_f32_e32 v54, v99, v35
	v_fmac_f32_e32 v3, 0xbf167918, v23
	v_fma_f32 v22, -0.5, v27, v10
	v_fma_f32 v10, -0.5, v31, v10
	s_delay_alu instid0(VALU_DEP_4)
	v_dual_fmac_f32 v17, 0x3e9e377a, v24 :: v_dual_fmac_f32 v54, v98, v34
	v_dual_add_f32 v31, v11, v83 :: v_dual_fmac_f32 v18, 0x3e9e377a, v21
	v_sub_f32_e32 v34, v85, v84
	v_dual_fmac_f32 v8, 0x3e9e377a, v21 :: v_dual_add_f32 v21, v19, v79
	v_dual_fmac_f32 v52, v96, v32 :: v_dual_fmamk_f32 v19, v23, 0xbf737871, v9
	v_fmac_f32_e32 v9, 0x3f737871, v23
	v_add_f32_e32 v23, v28, v80
	v_add_f32_e32 v33, v33, v34
	s_delay_alu instid0(VALU_DEP_4) | instskip(SKIP_1) | instid1(VALU_DEP_4)
	v_dual_sub_f32 v28, v81, v80 :: v_dual_fmac_f32 v19, 0x3f167918, v25
	v_sub_f32_e32 v27, v83, v85
	v_add_f32_e32 v23, v23, v87
	v_fmac_f32_e32 v9, 0xbf167918, v25
	s_delay_alu instid0(VALU_DEP_4) | instskip(SKIP_1) | instid1(VALU_DEP_4)
	v_dual_add_f32 v25, v28, v30 :: v_dual_sub_f32 v30, v87, v88
	v_add_f32_e32 v32, v82, v84
	v_dual_add_f32 v28, v23, v88 :: v_dual_sub_f32 v23, v80, v81
	v_fmac_f32_e32 v3, 0x3e9e377a, v24
	v_fmac_f32_e32 v19, 0x3e9e377a, v26
	;; [unrolled: 1-line block ×3, first 2 shown]
	v_fmamk_f32 v26, v29, 0x3f737871, v10
	v_add_f32_e32 v30, v23, v30
	v_fma_f32 v23, -0.5, v32, v11
	v_sub_f32_e32 v32, v80, v87
	v_fmamk_f32 v24, v27, 0xbf737871, v22
	v_fmac_f32_e32 v22, 0x3f737871, v27
	v_dual_fmac_f32 v10, 0xbf737871, v29 :: v_dual_add_f32 v35, v90, v91
	s_delay_alu instid0(VALU_DEP_3) | instskip(NEXT) | instid1(VALU_DEP_3)
	v_dual_sub_f32 v37, v92, v94 :: v_dual_fmac_f32 v24, 0xbf167918, v29
	v_dual_fmac_f32 v22, 0x3f167918, v29 :: v_dual_add_f32 v29, v31, v82
	ds_store_2addr_b64 v112, v[20:21], v[16:17] offset1:77
	ds_store_2addr_b64 v112, v[18:19], v[8:9] offset0:154 offset1:231
	ds_store_b64 v112, v[2:3] offset:2464
	scratch_load_b32 v3, off, off offset:468 ; 4-byte Folded Reload
	v_dual_sub_f32 v31, v81, v88 :: v_dual_fmac_f32 v24, 0x3e9e377a, v25
	v_sub_f32_e32 v74, v93, v91
	v_fmac_f32_e32 v22, 0x3e9e377a, v25
	v_fmac_f32_e32 v10, 0x3f167918, v27
	s_delay_alu instid0(VALU_DEP_4) | instskip(SKIP_2) | instid1(VALU_DEP_3)
	v_fmamk_f32 v25, v31, 0x3f737871, v23
	v_dual_fmac_f32 v23, 0xbf737871, v31 :: v_dual_sub_f32 v34, v84, v85
	v_dual_add_f32 v75, v86, v93 :: v_dual_sub_f32 v78, v95, v94
	v_fmac_f32_e32 v25, 0x3f167918, v32
	s_delay_alu instid0(VALU_DEP_3) | instskip(SKIP_1) | instid1(VALU_DEP_4)
	v_fmac_f32_e32 v23, 0xbf167918, v32
	v_dual_add_f32 v80, v6, v100 :: v_dual_add_f32 v79, v72, v102
	v_add_f32_e32 v77, v77, v78
	s_delay_alu instid0(VALU_DEP_4) | instskip(NEXT) | instid1(VALU_DEP_4)
	v_fmac_f32_e32 v25, 0x3e9e377a, v33
	v_fmac_f32_e32 v23, 0x3e9e377a, v33
	v_dual_add_f32 v33, v36, v90 :: v_dual_fmac_f32 v26, 0xbf167918, v27
	v_add_f32_e32 v27, v29, v84
	v_dual_add_f32 v29, v83, v85 :: v_dual_sub_f32 v36, v86, v90
	v_add_f32_e32 v76, v92, v94
	v_dual_sub_f32 v78, v94, v95 :: v_dual_sub_f32 v81, v71, v113
	s_delay_alu instid0(VALU_DEP_3) | instskip(SKIP_3) | instid1(VALU_DEP_4)
	v_fmac_f32_e32 v11, -0.5, v29
	v_add_f32_e32 v29, v27, v85
	v_sub_f32_e32 v85, v103, v113
	v_sub_f32_e32 v87, v63, v68
	v_fmamk_f32 v27, v32, 0xbf737871, v11
	v_fmac_f32_e32 v11, 0x3f737871, v32
	s_delay_alu instid0(VALU_DEP_2) | instskip(NEXT) | instid1(VALU_DEP_2)
	v_fmac_f32_e32 v27, 0x3f167918, v31
	v_fmac_f32_e32 v11, 0xbf167918, v31
	;; [unrolled: 1-line block ×4, first 2 shown]
	v_sub_f32_e32 v30, v82, v83
	v_add_f32_e32 v31, v33, v91
	v_dual_add_f32 v33, v36, v74 :: v_dual_sub_f32 v74, v91, v93
	v_sub_f32_e32 v82, v101, v102
	s_delay_alu instid0(VALU_DEP_4) | instskip(SKIP_4) | instid1(VALU_DEP_3)
	v_add_f32_e32 v34, v30, v34
	v_fma_f32 v30, -0.5, v35, v4
	v_sub_f32_e32 v35, v89, v95
	v_fma_f32 v4, -0.5, v75, v4
	v_add_f32_e32 v75, v5, v89
	v_dual_add_f32 v83, v100, v101 :: v_dual_fmamk_f32 v32, v35, 0xbf737871, v30
	v_fmac_f32_e32 v30, 0x3f737871, v35
	s_delay_alu instid0(VALU_DEP_4) | instskip(SKIP_1) | instid1(VALU_DEP_4)
	v_fmamk_f32 v36, v37, 0x3f737871, v4
	v_fmac_f32_e32 v4, 0xbf737871, v37
	v_fmac_f32_e32 v32, 0xbf167918, v37
	s_delay_alu instid0(VALU_DEP_4) | instskip(NEXT) | instid1(VALU_DEP_4)
	v_dual_fmac_f32 v30, 0x3f167918, v37 :: v_dual_add_f32 v37, v75, v92
	v_fmac_f32_e32 v36, 0xbf167918, v35
	s_delay_alu instid0(VALU_DEP_4) | instskip(NEXT) | instid1(VALU_DEP_3)
	v_dual_fmac_f32 v4, 0x3f167918, v35 :: v_dual_sub_f32 v75, v86, v93
	v_dual_fmac_f32 v32, 0x3e9e377a, v33 :: v_dual_add_f32 v35, v37, v94
	v_add_f32_e32 v37, v89, v95
	v_fmac_f32_e32 v27, 0x3e9e377a, v34
	v_dual_fmac_f32 v11, 0x3e9e377a, v34 :: v_dual_add_f32 v34, v31, v93
	v_sub_f32_e32 v31, v90, v86
	v_add_f32_e32 v35, v35, v95
	s_waitcnt vmcnt(0)
	ds_store_2addr_b64 v3, v[28:29], v[24:25] offset1:77
	ds_store_2addr_b64 v3, v[26:27], v[10:11] offset0:154 offset1:231
	scratch_load_b32 v8, off, off offset:476 ; 4-byte Folded Reload
	ds_store_b64 v3, v[22:23] offset:2464
	scratch_load_b32 v3, off, off offset:472 ; 4-byte Folded Reload
	v_add_f32_e32 v74, v31, v74
	v_fma_f32 v31, -0.5, v76, v5
	v_sub_f32_e32 v76, v90, v91
	v_fma_f32 v5, -0.5, v37, v5
	s_delay_alu instid0(VALU_DEP_1) | instskip(SKIP_1) | instid1(VALU_DEP_2)
	v_fmamk_f32 v37, v76, 0xbf737871, v5
	v_fmac_f32_e32 v5, 0x3f737871, v76
	v_fmac_f32_e32 v37, 0x3f167918, v75
	;; [unrolled: 1-line block ×3, first 2 shown]
	v_fmamk_f32 v33, v75, 0x3f737871, v31
	v_fmac_f32_e32 v31, 0xbf737871, v75
	v_fmac_f32_e32 v5, 0xbf167918, v75
	s_delay_alu instid0(VALU_DEP_3) | instskip(NEXT) | instid1(VALU_DEP_3)
	v_fmac_f32_e32 v33, 0x3f167918, v76
	v_fmac_f32_e32 v31, 0xbf167918, v76
	s_delay_alu instid0(VALU_DEP_2) | instskip(NEXT) | instid1(VALU_DEP_2)
	v_fmac_f32_e32 v33, 0x3e9e377a, v77
	v_dual_fmac_f32 v31, 0x3e9e377a, v77 :: v_dual_fmac_f32 v36, 0x3e9e377a, v74
	v_fmac_f32_e32 v4, 0x3e9e377a, v74
	v_sub_f32_e32 v74, v92, v89
	v_add_f32_e32 v77, v80, v72
	v_sub_f32_e32 v80, v100, v72
	s_delay_alu instid0(VALU_DEP_3)
	v_dual_add_f32 v89, v64, v67 :: v_dual_add_f32 v78, v74, v78
	v_fma_f32 v74, -0.5, v79, v6
	v_sub_f32_e32 v79, v73, v103
	v_add_f32_e32 v75, v77, v102
	v_fma_f32 v6, -0.5, v83, v6
	v_add_f32_e32 v83, v7, v73
	s_delay_alu instid0(VALU_DEP_4) | instskip(SKIP_1) | instid1(VALU_DEP_4)
	v_dual_add_f32 v77, v80, v82 :: v_dual_fmamk_f32 v76, v79, 0xbf737871, v74
	v_fmac_f32_e32 v74, 0x3f737871, v79
	v_fmamk_f32 v80, v81, 0x3f737871, v6
	v_fmac_f32_e32 v6, 0xbf737871, v81
	s_delay_alu instid0(VALU_DEP_4) | instskip(NEXT) | instid1(VALU_DEP_4)
	v_fmac_f32_e32 v76, 0xbf167918, v81
	v_dual_fmac_f32 v74, 0x3f167918, v81 :: v_dual_add_f32 v81, v83, v71
	v_fmac_f32_e32 v37, 0x3e9e377a, v78
	v_dual_fmac_f32 v5, 0x3e9e377a, v78 :: v_dual_add_f32 v78, v75, v101
	v_sub_f32_e32 v75, v72, v100
	v_sub_f32_e32 v83, v100, v101
	;; [unrolled: 1-line block ×4, first 2 shown]
	v_add_f32_e32 v84, v71, v113
	v_fmac_f32_e32 v6, 0x3f167918, v79
	s_delay_alu instid0(VALU_DEP_4) | instskip(NEXT) | instid1(VALU_DEP_3)
	v_add_f32_e32 v82, v75, v82
	v_fma_f32 v75, -0.5, v84, v7
	v_dual_sub_f32 v84, v73, v71 :: v_dual_sub_f32 v71, v71, v73
	v_dual_fmac_f32 v80, 0xbf167918, v79 :: v_dual_add_f32 v79, v81, v113
	v_dual_add_f32 v81, v73, v103 :: v_dual_fmac_f32 v76, 0x3e9e377a, v77
	v_dual_sub_f32 v73, v113, v103 :: v_dual_fmac_f32 v74, 0x3e9e377a, v77
	v_fmamk_f32 v77, v83, 0x3f737871, v75
	s_delay_alu instid0(VALU_DEP_3) | instskip(SKIP_1) | instid1(VALU_DEP_4)
	v_fmac_f32_e32 v7, -0.5, v81
	v_fmac_f32_e32 v75, 0xbf737871, v83
	v_add_f32_e32 v73, v71, v73
	v_add_f32_e32 v79, v79, v103
	s_delay_alu instid0(VALU_DEP_4) | instskip(NEXT) | instid1(VALU_DEP_4)
	v_fmamk_f32 v81, v72, 0xbf737871, v7
	v_fmac_f32_e32 v75, 0xbf167918, v72
	s_delay_alu instid0(VALU_DEP_2) | instskip(SKIP_1) | instid1(VALU_DEP_2)
	v_fmac_f32_e32 v81, 0x3f167918, v83
	v_fmac_f32_e32 v80, 0x3e9e377a, v82
	v_dual_fmac_f32 v6, 0x3e9e377a, v82 :: v_dual_fmac_f32 v81, 0x3e9e377a, v73
	v_dual_add_f32 v82, v84, v85 :: v_dual_fmac_f32 v7, 0x3f737871, v72
	v_dual_add_f32 v84, v65, v66 :: v_dual_fmac_f32 v77, 0x3f167918, v72
	v_add_f32_e32 v85, v12, v69
	s_delay_alu instid0(VALU_DEP_3) | instskip(NEXT) | instid1(VALU_DEP_4)
	v_fmac_f32_e32 v75, 0x3e9e377a, v82
	v_fmac_f32_e32 v7, 0xbf167918, v83
	s_delay_alu instid0(VALU_DEP_4)
	v_fma_f32 v71, -0.5, v84, v12
	v_fmac_f32_e32 v77, 0x3e9e377a, v82
	v_sub_f32_e32 v86, v70, v66
	v_sub_f32_e32 v84, v69, v65
	v_fmac_f32_e32 v7, 0x3e9e377a, v73
	v_dual_fmamk_f32 v82, v87, 0xbf737871, v71 :: v_dual_sub_f32 v73, v66, v70
	v_dual_fmac_f32 v71, 0x3f737871, v87 :: v_dual_add_f32 v72, v85, v65
	s_delay_alu instid0(VALU_DEP_4) | instskip(SKIP_1) | instid1(VALU_DEP_1)
	v_add_f32_e32 v83, v84, v86
	v_dual_sub_f32 v85, v64, v67 :: v_dual_add_f32 v88, v69, v70
	v_dual_fmac_f32 v71, 0x3f167918, v85 :: v_dual_add_f32 v72, v72, v66
	s_delay_alu instid0(VALU_DEP_2) | instskip(SKIP_2) | instid1(VALU_DEP_4)
	v_fma_f32 v12, -0.5, v88, v12
	v_add_f32_e32 v88, v13, v63
	v_fmac_f32_e32 v82, 0xbf167918, v85
	v_dual_fmac_f32 v71, 0x3e9e377a, v83 :: v_dual_add_f32 v84, v72, v70
	s_delay_alu instid0(VALU_DEP_4) | instskip(SKIP_2) | instid1(VALU_DEP_3)
	v_fmamk_f32 v86, v85, 0x3f737871, v12
	v_sub_f32_e32 v72, v65, v69
	v_dual_fmac_f32 v12, 0xbf737871, v85 :: v_dual_sub_f32 v65, v65, v66
	v_dual_add_f32 v85, v88, v64 :: v_dual_fmac_f32 v86, 0xbf167918, v87
	v_sub_f32_e32 v69, v69, v70
	s_delay_alu instid0(VALU_DEP_2) | instskip(SKIP_2) | instid1(VALU_DEP_3)
	v_dual_add_f32 v70, v85, v67 :: v_dual_add_f32 v85, v63, v68
	v_dual_fmac_f32 v82, 0x3e9e377a, v83 :: v_dual_add_f32 v73, v72, v73
	v_fma_f32 v72, -0.5, v89, v13
	v_fma_f32 v13, -0.5, v85, v13
	v_sub_f32_e32 v66, v63, v64
	s_delay_alu instid0(VALU_DEP_4) | instskip(NEXT) | instid1(VALU_DEP_4)
	v_fmac_f32_e32 v86, 0x3e9e377a, v73
	v_fmamk_f32 v83, v69, 0x3f737871, v72
	v_fmac_f32_e32 v12, 0x3f167918, v87
	v_dual_sub_f32 v87, v68, v67 :: v_dual_fmac_f32 v72, 0xbf737871, v69
	v_sub_f32_e32 v63, v64, v63
	s_delay_alu instid0(VALU_DEP_4) | instskip(NEXT) | instid1(VALU_DEP_4)
	v_fmac_f32_e32 v83, 0x3f167918, v65
	v_fmac_f32_e32 v12, 0x3e9e377a, v73
	s_delay_alu instid0(VALU_DEP_4) | instskip(SKIP_3) | instid1(VALU_DEP_4)
	v_dual_add_f32 v66, v66, v87 :: v_dual_fmamk_f32 v87, v65, 0xbf737871, v13
	v_dual_sub_f32 v64, v67, v68 :: v_dual_fmac_f32 v13, 0x3f737871, v65
	v_dual_add_f32 v67, v57, v59 :: v_dual_fmac_f32 v72, 0xbf167918, v65
	v_sub_f32_e32 v73, v62, v59
	v_fmac_f32_e32 v87, 0x3f167918, v69
	v_fmac_f32_e32 v83, 0x3e9e377a, v66
	v_add_f32_e32 v85, v70, v68
	v_add_f32_e32 v68, v14, v60
	v_sub_f32_e32 v70, v55, v61
	v_add_f32_e32 v64, v63, v64
	v_fma_f32 v63, -0.5, v67, v14
	v_dual_sub_f32 v67, v60, v57 :: v_dual_fmac_f32 v72, 0x3e9e377a, v66
	v_fmac_f32_e32 v13, 0xbf167918, v69
	s_delay_alu instid0(VALU_DEP_3) | instskip(NEXT) | instid1(VALU_DEP_3)
	v_fmamk_f32 v65, v70, 0xbf737871, v63
	v_add_f32_e32 v73, v67, v73
	v_add_f32_e32 v66, v68, v57
	v_dual_sub_f32 v68, v56, v58 :: v_dual_fmac_f32 v87, 0x3e9e377a, v64
	v_dual_add_f32 v88, v60, v62 :: v_dual_fmac_f32 v13, 0x3e9e377a, v64
	v_fmac_f32_e32 v63, 0x3f737871, v70
	s_delay_alu instid0(VALU_DEP_3) | instskip(NEXT) | instid1(VALU_DEP_3)
	v_dual_fmac_f32 v65, 0xbf167918, v68 :: v_dual_add_f32 v66, v66, v59
	v_fma_f32 v14, -0.5, v88, v14
	v_sub_f32_e32 v64, v57, v60
	s_delay_alu instid0(VALU_DEP_3) | instskip(NEXT) | instid1(VALU_DEP_4)
	v_dual_add_f32 v88, v15, v55 :: v_dual_fmac_f32 v65, 0x3e9e377a, v73
	v_add_f32_e32 v67, v66, v62
	s_delay_alu instid0(VALU_DEP_4) | instskip(SKIP_2) | instid1(VALU_DEP_3)
	v_dual_fmamk_f32 v69, v68, 0x3f737871, v14 :: v_dual_sub_f32 v66, v59, v62
	v_fmac_f32_e32 v63, 0x3f167918, v68
	v_dual_add_f32 v89, v56, v58 :: v_dual_fmac_f32 v14, 0xbf737871, v68
	v_fmac_f32_e32 v69, 0xbf167918, v70
	s_delay_alu instid0(VALU_DEP_4) | instskip(SKIP_1) | instid1(VALU_DEP_4)
	v_add_f32_e32 v90, v64, v66
	v_add_f32_e32 v66, v88, v56
	v_fma_f32 v64, -0.5, v89, v15
	v_dual_sub_f32 v60, v60, v62 :: v_dual_fmac_f32 v63, 0x3e9e377a, v73
	s_delay_alu instid0(VALU_DEP_4) | instskip(SKIP_2) | instid1(VALU_DEP_3)
	v_dual_fmac_f32 v69, 0x3e9e377a, v90 :: v_dual_add_f32 v68, v55, v61
	v_dual_fmac_f32 v14, 0x3f167918, v70 :: v_dual_sub_f32 v57, v57, v59
	v_dual_add_f32 v62, v66, v58 :: v_dual_sub_f32 v59, v55, v56
	v_dual_fmamk_f32 v66, v60, 0x3f737871, v64 :: v_dual_fmac_f32 v15, -0.5, v68
	v_dual_sub_f32 v70, v61, v58 :: v_dual_sub_f32 v55, v56, v55
	s_delay_alu instid0(VALU_DEP_3) | instskip(NEXT) | instid1(VALU_DEP_3)
	v_add_f32_e32 v68, v62, v61
	v_fmac_f32_e32 v66, 0x3f167918, v57
	s_delay_alu instid0(VALU_DEP_3) | instskip(SKIP_4) | instid1(VALU_DEP_4)
	v_dual_sub_f32 v62, v54, v52 :: v_dual_add_f32 v59, v59, v70
	v_fmamk_f32 v70, v57, 0xbf737871, v15
	v_fmac_f32_e32 v15, 0x3f737871, v57
	v_sub_f32_e32 v56, v58, v61
	v_dual_add_f32 v58, v49, v52 :: v_dual_sub_f32 v61, v50, v49
	v_fmac_f32_e32 v70, 0x3f167918, v60
	s_delay_alu instid0(VALU_DEP_4) | instskip(NEXT) | instid1(VALU_DEP_4)
	v_fmac_f32_e32 v15, 0xbf167918, v60
	v_add_f32_e32 v56, v55, v56
	s_delay_alu instid0(VALU_DEP_4)
	v_fma_f32 v55, -0.5, v58, v0
	v_sub_f32_e32 v58, v47, v53
	v_fmac_f32_e32 v64, 0xbf737871, v60
	v_dual_sub_f32 v60, v48, v51 :: v_dual_add_f32 v73, v50, v54
	v_add_f32_e32 v61, v61, v62
	v_sub_f32_e32 v62, v49, v50
	s_delay_alu instid0(VALU_DEP_4) | instskip(SKIP_3) | instid1(VALU_DEP_4)
	v_dual_fmac_f32 v64, 0xbf167918, v57 :: v_dual_add_f32 v57, v0, v50
	v_fmac_f32_e32 v14, 0x3e9e377a, v90
	v_fmac_f32_e32 v66, 0x3e9e377a, v59
	v_fma_f32 v0, -0.5, v73, v0
	v_dual_fmac_f32 v64, 0x3e9e377a, v59 :: v_dual_add_f32 v59, v57, v49
	v_fmamk_f32 v57, v58, 0xbf737871, v55
	v_sub_f32_e32 v73, v52, v54
	v_dual_sub_f32 v50, v50, v54 :: v_dual_sub_f32 v49, v49, v52
	s_delay_alu instid0(VALU_DEP_4) | instskip(NEXT) | instid1(VALU_DEP_4)
	v_add_f32_e32 v59, v59, v52
	v_fmac_f32_e32 v57, 0xbf167918, v60
	v_fmac_f32_e32 v55, 0x3f737871, v58
	;; [unrolled: 1-line block ×3, first 2 shown]
	v_dual_fmac_f32 v15, 0x3e9e377a, v56 :: v_dual_add_f32 v56, v48, v51
	s_delay_alu instid0(VALU_DEP_4) | instskip(NEXT) | instid1(VALU_DEP_4)
	v_fmac_f32_e32 v57, 0x3e9e377a, v61
	v_fmac_f32_e32 v55, 0x3f167918, v60
	v_add_f32_e32 v59, v59, v54
	s_delay_alu instid0(VALU_DEP_4) | instskip(NEXT) | instid1(VALU_DEP_3)
	v_fma_f32 v56, -0.5, v56, v1
	v_fmac_f32_e32 v55, 0x3e9e377a, v61
	v_fmamk_f32 v61, v60, 0x3f737871, v0
	v_fmac_f32_e32 v0, 0xbf737871, v60
	v_add_f32_e32 v54, v62, v73
	v_add_f32_e32 v62, v47, v53
	s_delay_alu instid0(VALU_DEP_4) | instskip(NEXT) | instid1(VALU_DEP_4)
	v_dual_add_f32 v60, v1, v47 :: v_dual_fmac_f32 v61, 0xbf167918, v58
	v_fmac_f32_e32 v0, 0x3f167918, v58
	s_delay_alu instid0(VALU_DEP_2) | instskip(NEXT) | instid1(VALU_DEP_3)
	v_dual_fmac_f32 v1, -0.5, v62 :: v_dual_add_f32 v60, v60, v48
	v_fmac_f32_e32 v61, 0x3e9e377a, v54
	v_fmamk_f32 v58, v50, 0x3f737871, v56
	s_delay_alu instid0(VALU_DEP_4) | instskip(NEXT) | instid1(VALU_DEP_4)
	v_fmac_f32_e32 v0, 0x3e9e377a, v54
	v_fmamk_f32 v62, v49, 0xbf737871, v1
	v_dual_fmac_f32 v1, 0x3f737871, v49 :: v_dual_add_f32 v52, v60, v51
	v_sub_f32_e32 v60, v53, v51
	v_fmac_f32_e32 v56, 0xbf737871, v50
	v_fmac_f32_e32 v58, 0x3f167918, v49
	s_delay_alu instid0(VALU_DEP_4) | instskip(SKIP_1) | instid1(VALU_DEP_4)
	v_dual_fmac_f32 v1, 0xbf167918, v50 :: v_dual_sub_f32 v54, v47, v48
	v_dual_sub_f32 v47, v48, v47 :: v_dual_sub_f32 v48, v51, v53
	v_fmac_f32_e32 v56, 0xbf167918, v49
	s_delay_alu instid0(VALU_DEP_2) | instskip(NEXT) | instid1(VALU_DEP_1)
	v_dual_fmac_f32 v62, 0x3f167918, v50 :: v_dual_add_f32 v47, v47, v48
	v_fmac_f32_e32 v1, 0x3e9e377a, v47
	v_dual_add_f32 v51, v54, v60 :: v_dual_add_f32 v60, v52, v53
	s_delay_alu instid0(VALU_DEP_3) | instskip(NEXT) | instid1(VALU_DEP_2)
	v_fmac_f32_e32 v62, 0x3e9e377a, v47
	v_fmac_f32_e32 v58, 0x3e9e377a, v51
	;; [unrolled: 1-line block ×3, first 2 shown]
	s_waitcnt vmcnt(1)
	v_add_nc_u32_e32 v2, 0x1800, v8
	s_waitcnt vmcnt(0)
	ds_store_2addr_b64 v3, v[34:35], v[32:33] offset1:77
	ds_store_2addr_b64 v3, v[36:37], v[4:5] offset0:154 offset1:231
	ds_store_b64 v3, v[30:31] offset:2464
	ds_store_2addr_b64 v2, v[78:79], v[76:77] offset0:2 offset1:79
	ds_store_2addr_b64 v2, v[80:81], v[6:7] offset0:156 offset1:233
	ds_store_b64 v8, v[74:75] offset:8624
	scratch_load_b32 v3, off, off offset:480 ; 4-byte Folded Reload
	s_waitcnt vmcnt(0)
	ds_store_2addr_b64 v3, v[84:85], v[82:83] offset1:77
	ds_store_2addr_b64 v3, v[86:87], v[12:13] offset0:154 offset1:231
	scratch_load_b32 v4, off, off offset:488 ; 4-byte Folded Reload
	ds_store_b64 v3, v[71:72] offset:2464
	scratch_load_b32 v3, off, off offset:484 ; 4-byte Folded Reload
	s_waitcnt vmcnt(1)
	v_add_nc_u32_e32 v2, 0x3000, v4
	s_waitcnt vmcnt(0)
	ds_store_2addr_b64 v3, v[67:68], v[65:66] offset1:77
	ds_store_2addr_b64 v3, v[69:70], v[14:15] offset0:154 offset1:231
	ds_store_b64 v3, v[63:64] offset:2464
	ds_store_2addr_b64 v2, v[59:60], v[57:58] offset0:4 offset1:81
	ds_store_2addr_b64 v2, v[61:62], v[0:1] offset0:158 offset1:235
	ds_store_b64 v4, v[55:56] offset:14784
	s_waitcnt lgkmcnt(0)
	s_barrier
	buffer_gl0_inv
	ds_load_2addr_b64 v[0:3], v39 offset0:74 offset1:129
	ds_load_2addr_b64 v[8:11], v112 offset1:55
	ds_load_2addr_b64 v[16:19], v45 offset0:2 offset1:57
	ds_load_2addr_b64 v[20:23], v41 offset0:76 offset1:131
	;; [unrolled: 1-line block ×15, first 2 shown]
	ds_load_b64 v[36:37], v112 offset:14960
	s_waitcnt lgkmcnt(17)
	v_mul_f32_e32 v89, v153, v3
	v_mul_f32_e32 v63, v153, v2
	s_waitcnt lgkmcnt(14)
	v_dual_mul_f32 v91, v155, v17 :: v_dual_mul_f32 v92, v169, v23
	s_waitcnt lgkmcnt(13)
	v_mul_f32_e32 v93, v171, v25
	v_fmac_f32_e32 v89, v152, v2
	v_fma_f32 v90, v152, v3, -v63
	s_waitcnt lgkmcnt(12)
	v_dual_mul_f32 v2, v155, v16 :: v_dual_mul_f32 v99, v165, v31
	v_mul_f32_e32 v3, v169, v22
	v_dual_fmac_f32 v91, v154, v16 :: v_dual_fmac_f32 v92, v168, v22
	s_delay_alu instid0(VALU_DEP_3) | instskip(SKIP_1) | instid1(VALU_DEP_4)
	v_fma_f32 v94, v154, v17, -v2
	v_mul_f32_e32 v2, v171, v24
	v_fma_f32 v22, v168, v23, -v3
	v_dual_mul_f32 v3, v173, v28 :: v_dual_mul_f32 v16, v175, v18
	s_waitcnt lgkmcnt(9)
	v_dual_mul_f32 v101, v161, v35 :: v_dual_mul_f32 v100, v167, v48
	v_mul_f32_e32 v95, v173, v29
	v_fma_f32 v23, v170, v25, -v2
	v_fma_f32 v97, v172, v29, -v3
	s_delay_alu instid0(VALU_DEP_4)
	v_fmac_f32_e32 v101, v160, v34
	v_fma_f32 v98, v174, v19, -v16
	v_dual_mul_f32 v29, v157, v33 :: v_dual_mul_f32 v96, v175, v19
	v_dual_mul_f32 v2, v157, v32 :: v_dual_fmac_f32 v99, v164, v30
	s_waitcnt lgkmcnt(7)
	v_dual_fmac_f32 v100, v166, v47 :: v_dual_mul_f32 v105, v193, v56
	v_mul_f32_e32 v16, v161, v34
	v_mul_f32_e32 v3, v159, v26
	v_dual_fmac_f32 v29, v156, v32 :: v_dual_fmac_f32 v96, v174, v18
	v_fma_f32 v32, v156, v33, -v2
	v_fmac_f32_e32 v105, v192, v55
	v_fma_f32 v104, v160, v35, -v16
	v_dual_mul_f32 v35, v163, v52 :: v_dual_mul_f32 v2, v165, v30
	v_fma_f32 v33, v158, v27, -v3
	v_mul_f32_e32 v3, v167, v47
	s_delay_alu instid0(VALU_DEP_3) | instskip(NEXT) | instid1(VALU_DEP_4)
	v_dual_mul_f32 v72, v195, v50 :: v_dual_fmac_f32 v35, v162, v51
	v_fma_f32 v102, v164, v31, -v2
	s_waitcnt lgkmcnt(6)
	v_dual_mul_f32 v2, v163, v51 :: v_dual_mul_f32 v107, v201, v60
	v_fma_f32 v103, v166, v48, -v3
	v_dual_mul_f32 v3, v193, v55 :: v_dual_fmac_f32 v72, v194, v49
	s_delay_alu instid0(VALU_DEP_3) | instskip(NEXT) | instid1(VALU_DEP_4)
	v_fma_f32 v106, v162, v52, -v2
	v_dual_mul_f32 v2, v195, v49 :: v_dual_fmac_f32 v107, v200, v59
	s_delay_alu instid0(VALU_DEP_3) | instskip(SKIP_2) | instid1(VALU_DEP_4)
	v_fma_f32 v71, v192, v56, -v3
	v_dual_mul_f32 v3, v201, v59 :: v_dual_mul_f32 v16, v203, v53
	v_mul_f32_e32 v69, v197, v58
	v_fma_f32 v109, v194, v50, -v2
	v_mul_f32_e32 v2, v197, v57
	v_mul_f32_e32 v108, v203, v54
	v_fma_f32 v110, v200, v60, -v3
	v_fmac_f32_e32 v69, v196, v57
	s_waitcnt lgkmcnt(4)
	v_dual_mul_f32 v3, v199, v73 :: v_dual_mul_f32 v66, v185, v62
	v_mul_f32_e32 v57, v191, v76
	v_fma_f32 v63, v196, v58, -v2
	v_mul_f32_e32 v2, v185, v61
	v_dual_fmac_f32 v108, v202, v53 :: v_dual_mul_f32 v65, v199, v74
	v_fma_f32 v64, v198, v74, -v3
	s_waitcnt lgkmcnt(1)
	v_dual_fmac_f32 v66, v184, v61 :: v_dual_mul_f32 v59, v181, v86
	v_dual_mul_f32 v3, v187, v77 :: v_dual_mul_f32 v60, v189, v82
	v_fmac_f32_e32 v57, v190, v75
	v_fma_f32 v67, v184, v62, -v2
	s_delay_alu instid0(VALU_DEP_4)
	v_dual_mul_f32 v62, v183, v80 :: v_dual_fmac_f32 v59, v180, v85
	v_fma_f32 v111, v202, v54, -v16
	v_dual_fmac_f32 v65, v198, v73 :: v_dual_mul_f32 v70, v187, v78
	v_fma_f32 v68, v186, v78, -v3
	v_dual_mul_f32 v2, v191, v75 :: v_dual_mul_f32 v3, v181, v85
	v_dual_fmac_f32 v62, v182, v79 :: v_dual_mul_f32 v49, v207, v21
	v_dual_mul_f32 v16, v189, v81 :: v_dual_fmac_f32 v93, v170, v24
	v_fmac_f32_e32 v70, v186, v77
	s_delay_alu instid0(VALU_DEP_4)
	v_fma_f32 v58, v180, v86, -v3
	v_mul_f32_e32 v3, v205, v83
	v_fmac_f32_e32 v49, v206, v20
	v_fma_f32 v55, v188, v82, -v16
	v_mul_f32_e32 v16, v207, v20
	v_fmac_f32_e32 v60, v188, v81
	v_fma_f32 v56, v190, v76, -v2
	v_dual_mul_f32 v2, v183, v79 :: v_dual_sub_f32 v19, v94, v22
	v_fma_f32 v47, v204, v84, -v3
	v_fma_f32 v48, v206, v21, -v16
	v_dual_mul_f32 v3, v177, v87 :: v_dual_add_f32 v16, v8, v89
	v_dual_mul_f32 v50, v205, v84 :: v_dual_sub_f32 v17, v90, v23
	v_fma_f32 v61, v182, v80, -v2
	v_add_f32_e32 v2, v91, v92
	s_delay_alu instid0(VALU_DEP_4)
	v_fma_f32 v51, v176, v88, -v3
	v_add_f32_e32 v3, v16, v91
	v_mul_f32_e32 v25, v159, v27
	v_fmac_f32_e32 v50, v204, v83
	s_waitcnt lgkmcnt(0)
	v_dual_mul_f32 v54, v179, v37 :: v_dual_add_f32 v27, v94, v22
	v_sub_f32_e32 v18, v89, v91
	v_sub_f32_e32 v20, v93, v92
	v_add_f32_e32 v21, v89, v93
	v_add_f32_e32 v3, v3, v92
	v_dual_fmac_f32 v25, v158, v26 :: v_dual_mul_f32 v52, v177, v88
	v_fma_f32 v2, -0.5, v2, v8
	v_fmac_f32_e32 v54, v178, v36
	v_mul_f32_e32 v24, v179, v36
	v_add_f32_e32 v26, v18, v20
	v_fma_f32 v18, -0.5, v21, v8
	v_add_f32_e32 v8, v3, v93
	v_sub_f32_e32 v3, v91, v89
	v_sub_f32_e32 v21, v92, v93
	v_fmac_f32_e32 v52, v176, v87
	v_dual_fmamk_f32 v20, v19, 0x3f737871, v18 :: v_dual_sub_f32 v31, v97, v33
	s_delay_alu instid0(VALU_DEP_3)
	v_dual_fmac_f32 v18, 0xbf737871, v19 :: v_dual_add_f32 v21, v3, v21
	v_fma_f32 v3, -0.5, v27, v9
	v_sub_f32_e32 v27, v89, v93
	v_fma_f32 v53, v178, v37, -v24
	v_add_f32_e32 v24, v9, v90
	v_fmamk_f32 v16, v17, 0xbf737871, v2
	v_dual_fmac_f32 v2, 0x3f737871, v17 :: v_dual_fmac_f32 v95, v172, v28
	v_sub_f32_e32 v28, v90, v94
	v_sub_f32_e32 v30, v23, v22
	s_delay_alu instid0(VALU_DEP_4) | instskip(NEXT) | instid1(VALU_DEP_4)
	v_fmac_f32_e32 v16, 0xbf167918, v19
	v_dual_fmac_f32 v2, 0x3f167918, v19 :: v_dual_add_f32 v19, v24, v94
	v_sub_f32_e32 v73, v33, v32
	v_dual_add_f32 v37, v98, v32 :: v_dual_sub_f32 v34, v25, v29
	v_add_f32_e32 v36, v95, v25
	s_delay_alu instid0(VALU_DEP_4) | instskip(SKIP_3) | instid1(VALU_DEP_4)
	v_dual_add_f32 v24, v19, v22 :: v_dual_add_f32 v19, v90, v23
	v_sub_f32_e32 v22, v22, v23
	v_add_f32_e32 v75, v99, v35
	v_dual_sub_f32 v74, v35, v101 :: v_dual_sub_f32 v77, v106, v104
	v_fma_f32 v19, -0.5, v19, v9
	v_add_f32_e32 v9, v24, v23
	v_add_f32_e32 v24, v28, v30
	v_dual_sub_f32 v28, v94, v90 :: v_dual_add_f32 v23, v96, v29
	v_add_f32_e32 v30, v10, v95
	v_fmac_f32_e32 v16, 0x3e9e377a, v26
	v_add_f32_e32 v76, v103, v104
	s_delay_alu instid0(VALU_DEP_4) | instskip(SKIP_4) | instid1(VALU_DEP_3)
	v_add_f32_e32 v28, v28, v22
	v_fma_f32 v22, -0.5, v23, v10
	v_dual_add_f32 v23, v30, v96 :: v_dual_fmac_f32 v2, 0x3e9e377a, v26
	v_sub_f32_e32 v26, v91, v92
	v_fmac_f32_e32 v20, 0xbf167918, v17
	v_dual_sub_f32 v30, v98, v32 :: v_dual_add_f32 v23, v23, v29
	v_fmac_f32_e32 v18, 0x3f167918, v17
	v_fmamk_f32 v17, v27, 0x3f737871, v3
	v_fmac_f32_e32 v3, 0xbf737871, v27
	v_fma_f32 v10, -0.5, v36, v10
	v_add_f32_e32 v79, v14, v105
	v_dual_fmac_f32 v18, 0x3e9e377a, v21 :: v_dual_sub_f32 v81, v108, v107
	s_delay_alu instid0(VALU_DEP_4)
	v_fmac_f32_e32 v3, 0xbf167918, v26
	v_fmac_f32_e32 v20, 0x3e9e377a, v21
	v_fmamk_f32 v21, v26, 0xbf737871, v19
	v_fmac_f32_e32 v19, 0x3f737871, v26
	v_add_f32_e32 v85, v4, v69
	v_fmac_f32_e32 v3, 0x3e9e377a, v24
	v_sub_f32_e32 v87, v70, v66
	v_fmac_f32_e32 v21, 0x3f167918, v27
	v_fmac_f32_e32 v19, 0xbf167918, v27
	v_add_f32_e32 v89, v64, v67
	s_delay_alu instid0(VALU_DEP_3) | instskip(NEXT) | instid1(VALU_DEP_3)
	v_fmac_f32_e32 v21, 0x3e9e377a, v28
	v_dual_fmac_f32 v19, 0x3e9e377a, v28 :: v_dual_add_f32 v28, v23, v25
	v_sub_f32_e32 v23, v96, v95
	v_dual_fmac_f32 v17, 0x3f167918, v26 :: v_dual_sub_f32 v26, v95, v96
	s_delay_alu instid0(VALU_DEP_1) | instskip(NEXT) | instid1(VALU_DEP_2)
	v_fmac_f32_e32 v17, 0x3e9e377a, v24
	v_add_f32_e32 v27, v26, v34
	v_fmamk_f32 v26, v30, 0x3f737871, v10
	v_fmac_f32_e32 v10, 0xbf737871, v30
	v_fmamk_f32 v24, v31, 0xbf737871, v22
	v_fmac_f32_e32 v22, 0x3f737871, v31
	s_delay_alu instid0(VALU_DEP_4) | instskip(NEXT) | instid1(VALU_DEP_4)
	v_fmac_f32_e32 v26, 0xbf167918, v31
	v_dual_fmac_f32 v10, 0x3f167918, v31 :: v_dual_sub_f32 v31, v96, v29
	v_sub_f32_e32 v34, v29, v25
	v_fmac_f32_e32 v24, 0xbf167918, v30
	v_fmac_f32_e32 v22, 0x3f167918, v30
	s_delay_alu instid0(VALU_DEP_3) | instskip(SKIP_1) | instid1(VALU_DEP_4)
	v_add_f32_e32 v34, v23, v34
	v_fma_f32 v23, -0.5, v37, v11
	v_dual_sub_f32 v37, v97, v98 :: v_dual_fmac_f32 v24, 0x3e9e377a, v27
	s_delay_alu instid0(VALU_DEP_4) | instskip(NEXT) | instid1(VALU_DEP_4)
	v_fmac_f32_e32 v22, 0x3e9e377a, v27
	v_fmac_f32_e32 v26, 0x3e9e377a, v34
	;; [unrolled: 1-line block ×3, first 2 shown]
	s_delay_alu instid0(VALU_DEP_4) | instskip(SKIP_1) | instid1(VALU_DEP_1)
	v_add_f32_e32 v34, v37, v73
	v_add_f32_e32 v36, v11, v97
	v_dual_sub_f32 v73, v103, v104 :: v_dual_add_f32 v30, v36, v98
	s_delay_alu instid0(VALU_DEP_1) | instskip(SKIP_2) | instid1(VALU_DEP_3)
	v_dual_sub_f32 v36, v95, v25 :: v_dual_add_f32 v27, v30, v32
	v_add_f32_e32 v30, v97, v33
	v_sub_f32_e32 v32, v32, v33
	v_fmamk_f32 v25, v36, 0x3f737871, v23
	v_fmac_f32_e32 v23, 0xbf737871, v36
	v_add_f32_e32 v29, v27, v33
	v_dual_fmac_f32 v11, -0.5, v30 :: v_dual_sub_f32 v30, v98, v97
	s_delay_alu instid0(VALU_DEP_4) | instskip(NEXT) | instid1(VALU_DEP_4)
	v_fmac_f32_e32 v25, 0x3f167918, v31
	v_fmac_f32_e32 v23, 0xbf167918, v31
	v_add_f32_e32 v33, v100, v101
	s_delay_alu instid0(VALU_DEP_4) | instskip(SKIP_4) | instid1(VALU_DEP_4)
	v_fmamk_f32 v27, v31, 0xbf737871, v11
	v_dual_add_f32 v37, v30, v32 :: v_dual_add_f32 v32, v12, v99
	v_fmac_f32_e32 v11, 0x3f737871, v31
	v_fmac_f32_e32 v25, 0x3e9e377a, v34
	v_dual_fmac_f32 v23, 0x3e9e377a, v34 :: v_dual_sub_f32 v34, v99, v100
	v_add_f32_e32 v31, v32, v100
	v_fma_f32 v30, -0.5, v33, v12
	v_sub_f32_e32 v33, v102, v106
	s_delay_alu instid0(VALU_DEP_3) | instskip(SKIP_1) | instid1(VALU_DEP_3)
	v_dual_add_f32 v74, v34, v74 :: v_dual_add_f32 v31, v31, v101
	v_fma_f32 v34, -0.5, v75, v12
	v_fmamk_f32 v32, v33, 0xbf737871, v30
	v_dual_fmac_f32 v30, 0x3f737871, v33 :: v_dual_add_f32 v75, v13, v102
	s_delay_alu instid0(VALU_DEP_4) | instskip(SKIP_4) | instid1(VALU_DEP_3)
	v_add_f32_e32 v12, v31, v35
	v_sub_f32_e32 v31, v100, v99
	v_fmac_f32_e32 v27, 0x3f167918, v36
	v_dual_fmac_f32 v11, 0xbf167918, v36 :: v_dual_fmac_f32 v32, 0xbf167918, v73
	v_fmamk_f32 v36, v73, 0x3f737871, v34
	v_fmac_f32_e32 v27, 0x3e9e377a, v37
	s_delay_alu instid0(VALU_DEP_3) | instskip(SKIP_1) | instid1(VALU_DEP_1)
	v_fmac_f32_e32 v11, 0x3e9e377a, v37
	v_sub_f32_e32 v37, v101, v35
	v_add_f32_e32 v37, v31, v37
	v_fma_f32 v31, -0.5, v76, v13
	v_sub_f32_e32 v76, v99, v35
	v_fmac_f32_e32 v30, 0x3f167918, v73
	v_dual_fmac_f32 v34, 0xbf737871, v73 :: v_dual_add_f32 v73, v75, v103
	v_add_f32_e32 v35, v102, v106
	s_delay_alu instid0(VALU_DEP_2) | instskip(NEXT) | instid1(VALU_DEP_3)
	v_dual_sub_f32 v75, v102, v103 :: v_dual_fmac_f32 v34, 0x3f167918, v33
	v_add_f32_e32 v73, v73, v104
	s_delay_alu instid0(VALU_DEP_3) | instskip(NEXT) | instid1(VALU_DEP_3)
	v_fma_f32 v35, -0.5, v35, v13
	v_add_f32_e32 v75, v75, v77
	v_sub_f32_e32 v77, v104, v106
	v_fmac_f32_e32 v30, 0x3e9e377a, v74
	v_add_f32_e32 v13, v73, v106
	v_sub_f32_e32 v73, v103, v102
	v_fmac_f32_e32 v32, 0x3e9e377a, v74
	v_fmac_f32_e32 v34, 0x3e9e377a, v37
	s_delay_alu instid0(VALU_DEP_3) | instskip(NEXT) | instid1(VALU_DEP_1)
	v_dual_add_f32 v77, v73, v77 :: v_dual_add_f32 v78, v72, v107
	v_fma_f32 v73, -0.5, v78, v14
	v_sub_f32_e32 v78, v71, v111
	v_sub_f32_e32 v74, v100, v101
	v_fmac_f32_e32 v36, 0xbf167918, v33
	v_fmamk_f32 v33, v76, 0x3f737871, v31
	v_fmac_f32_e32 v31, 0xbf737871, v76
	s_delay_alu instid0(VALU_DEP_2) | instskip(NEXT) | instid1(VALU_DEP_2)
	v_fmac_f32_e32 v33, 0x3f167918, v74
	v_fmac_f32_e32 v31, 0xbf167918, v74
	s_delay_alu instid0(VALU_DEP_2) | instskip(NEXT) | instid1(VALU_DEP_2)
	v_dual_fmac_f32 v36, 0x3e9e377a, v37 :: v_dual_fmac_f32 v33, 0x3e9e377a, v75
	v_fmac_f32_e32 v31, 0x3e9e377a, v75
	v_fmamk_f32 v75, v78, 0xbf737871, v73
	v_fmamk_f32 v37, v74, 0xbf737871, v35
	v_fmac_f32_e32 v35, 0x3f737871, v74
	v_sub_f32_e32 v80, v109, v110
	v_dual_add_f32 v82, v105, v108 :: v_dual_fmac_f32 v73, 0x3f737871, v78
	s_delay_alu instid0(VALU_DEP_4) | instskip(NEXT) | instid1(VALU_DEP_4)
	v_fmac_f32_e32 v37, 0x3f167918, v76
	v_fmac_f32_e32 v35, 0xbf167918, v76
	v_add_f32_e32 v74, v79, v72
	v_sub_f32_e32 v79, v105, v72
	v_fmac_f32_e32 v75, 0xbf167918, v80
	v_fma_f32 v14, -0.5, v82, v14
	s_delay_alu instid0(VALU_DEP_4) | instskip(NEXT) | instid1(VALU_DEP_4)
	v_dual_fmac_f32 v35, 0x3e9e377a, v77 :: v_dual_add_f32 v74, v74, v107
	v_add_f32_e32 v76, v79, v81
	v_fmac_f32_e32 v37, 0x3e9e377a, v77
	s_delay_alu instid0(VALU_DEP_4) | instskip(NEXT) | instid1(VALU_DEP_4)
	v_dual_fmamk_f32 v79, v80, 0x3f737871, v14 :: v_dual_add_f32 v82, v15, v71
	v_add_f32_e32 v77, v74, v108
	s_delay_alu instid0(VALU_DEP_4) | instskip(SKIP_4) | instid1(VALU_DEP_4)
	v_dual_fmac_f32 v75, 0x3e9e377a, v76 :: v_dual_sub_f32 v74, v72, v105
	v_sub_f32_e32 v81, v107, v108
	v_dual_add_f32 v83, v109, v110 :: v_dual_fmac_f32 v14, 0xbf737871, v80
	v_fmac_f32_e32 v73, 0x3f167918, v80
	v_dual_fmac_f32 v79, 0xbf167918, v78 :: v_dual_add_f32 v80, v82, v109
	v_dual_sub_f32 v82, v105, v108 :: v_dual_add_f32 v81, v74, v81
	s_delay_alu instid0(VALU_DEP_4) | instskip(SKIP_1) | instid1(VALU_DEP_4)
	v_fma_f32 v74, -0.5, v83, v15
	v_fmac_f32_e32 v14, 0x3f167918, v78
	v_dual_add_f32 v78, v80, v110 :: v_dual_fmac_f32 v73, 0x3e9e377a, v76
	s_delay_alu instid0(VALU_DEP_4) | instskip(SKIP_2) | instid1(VALU_DEP_3)
	v_dual_add_f32 v80, v71, v111 :: v_dual_fmac_f32 v79, 0x3e9e377a, v81
	v_sub_f32_e32 v72, v72, v107
	v_dual_fmamk_f32 v76, v82, 0x3f737871, v74 :: v_dual_sub_f32 v83, v71, v109
	v_dual_sub_f32 v84, v111, v110 :: v_dual_fmac_f32 v15, -0.5, v80
	v_fmac_f32_e32 v14, 0x3e9e377a, v81
	s_delay_alu instid0(VALU_DEP_3) | instskip(NEXT) | instid1(VALU_DEP_3)
	v_dual_fmac_f32 v76, 0x3f167918, v72 :: v_dual_sub_f32 v71, v109, v71
	v_dual_add_f32 v81, v83, v84 :: v_dual_fmac_f32 v74, 0xbf737871, v82
	v_dual_sub_f32 v83, v110, v111 :: v_dual_add_f32 v84, v65, v66
	v_add_f32_e32 v78, v78, v111
	v_fmamk_f32 v80, v72, 0xbf737871, v15
	s_delay_alu instid0(VALU_DEP_3)
	v_dual_fmac_f32 v74, 0xbf167918, v72 :: v_dual_add_f32 v83, v71, v83
	v_fmac_f32_e32 v15, 0x3f737871, v72
	v_fma_f32 v71, -0.5, v84, v4
	v_sub_f32_e32 v84, v63, v68
	v_fmac_f32_e32 v76, 0x3e9e377a, v81
	v_fmac_f32_e32 v80, 0x3f167918, v82
	v_dual_fmac_f32 v15, 0xbf167918, v82 :: v_dual_add_f32 v72, v85, v65
	v_dual_sub_f32 v86, v64, v67 :: v_dual_sub_f32 v85, v69, v65
	s_delay_alu instid0(VALU_DEP_2) | instskip(SKIP_2) | instid1(VALU_DEP_4)
	v_dual_fmac_f32 v74, 0x3e9e377a, v81 :: v_dual_fmac_f32 v15, 0x3e9e377a, v83
	v_fmamk_f32 v81, v84, 0xbf737871, v71
	v_dual_fmac_f32 v71, 0x3f737871, v84 :: v_dual_add_f32 v88, v69, v70
	v_dual_add_f32 v82, v85, v87 :: v_dual_sub_f32 v87, v66, v70
	s_delay_alu instid0(VALU_DEP_3) | instskip(NEXT) | instid1(VALU_DEP_3)
	v_fmac_f32_e32 v81, 0xbf167918, v86
	v_fma_f32 v4, -0.5, v88, v4
	s_delay_alu instid0(VALU_DEP_4) | instskip(NEXT) | instid1(VALU_DEP_3)
	v_dual_add_f32 v88, v5, v63 :: v_dual_fmac_f32 v71, 0x3f167918, v86
	v_fmac_f32_e32 v81, 0x3e9e377a, v82
	s_delay_alu instid0(VALU_DEP_3) | instskip(SKIP_1) | instid1(VALU_DEP_4)
	v_dual_fmamk_f32 v85, v86, 0x3f737871, v4 :: v_dual_add_f32 v72, v72, v66
	v_fmac_f32_e32 v4, 0xbf737871, v86
	v_dual_add_f32 v86, v88, v64 :: v_dual_fmac_f32 v71, 0x3e9e377a, v82
	s_delay_alu instid0(VALU_DEP_3) | instskip(NEXT) | instid1(VALU_DEP_4)
	v_fmac_f32_e32 v85, 0xbf167918, v84
	v_dual_fmac_f32 v80, 0x3e9e377a, v83 :: v_dual_add_f32 v83, v72, v70
	v_sub_f32_e32 v72, v65, v69
	v_dual_sub_f32 v69, v69, v70 :: v_dual_fmac_f32 v4, 0x3f167918, v84
	v_add_f32_e32 v70, v86, v67
	s_delay_alu instid0(VALU_DEP_3) | instskip(SKIP_2) | instid1(VALU_DEP_3)
	v_dual_add_f32 v84, v63, v68 :: v_dual_add_f32 v87, v72, v87
	v_fma_f32 v72, -0.5, v89, v5
	v_dual_sub_f32 v65, v65, v66 :: v_dual_sub_f32 v66, v63, v64
	v_fma_f32 v5, -0.5, v84, v5
	s_delay_alu instid0(VALU_DEP_4) | instskip(NEXT) | instid1(VALU_DEP_4)
	v_fmac_f32_e32 v85, 0x3e9e377a, v87
	v_dual_fmamk_f32 v82, v69, 0x3f737871, v72 :: v_dual_sub_f32 v63, v64, v63
	v_sub_f32_e32 v86, v68, v67
	v_add_f32_e32 v84, v70, v68
	v_dual_sub_f32 v64, v67, v68 :: v_dual_add_f32 v67, v57, v59
	v_fmac_f32_e32 v4, 0x3e9e377a, v87
	v_dual_fmac_f32 v82, 0x3f167918, v65 :: v_dual_sub_f32 v87, v62, v59
	v_sub_f32_e32 v70, v55, v61
	s_delay_alu instid0(VALU_DEP_4)
	v_add_f32_e32 v64, v63, v64
	v_fma_f32 v63, -0.5, v67, v6
	v_fmac_f32_e32 v72, 0xbf737871, v69
	v_dual_sub_f32 v67, v60, v57 :: v_dual_add_f32 v66, v66, v86
	v_fmamk_f32 v86, v65, 0xbf737871, v5
	v_fmac_f32_e32 v5, 0x3f737871, v65
	s_delay_alu instid0(VALU_DEP_4) | instskip(NEXT) | instid1(VALU_DEP_4)
	v_fmac_f32_e32 v72, 0xbf167918, v65
	v_dual_add_f32 v88, v60, v62 :: v_dual_add_f32 v87, v67, v87
	v_add_f32_e32 v68, v6, v60
	v_fmamk_f32 v65, v70, 0xbf737871, v63
	v_fmac_f32_e32 v5, 0xbf167918, v69
	v_fmac_f32_e32 v72, 0x3e9e377a, v66
	v_fma_f32 v6, -0.5, v88, v6
	v_fmac_f32_e32 v63, 0x3f737871, v70
	s_delay_alu instid0(VALU_DEP_4) | instskip(SKIP_3) | instid1(VALU_DEP_2)
	v_dual_fmac_f32 v82, 0x3e9e377a, v66 :: v_dual_fmac_f32 v5, 0x3e9e377a, v64
	v_add_f32_e32 v66, v68, v57
	v_sub_f32_e32 v68, v56, v58
	v_dual_fmac_f32 v86, 0x3f167918, v69 :: v_dual_add_f32 v89, v56, v58
	v_fmac_f32_e32 v63, 0x3f167918, v68
	s_delay_alu instid0(VALU_DEP_2)
	v_fmac_f32_e32 v86, 0x3e9e377a, v64
	v_sub_f32_e32 v64, v57, v60
	v_sub_f32_e32 v57, v57, v59
	v_fmamk_f32 v69, v68, 0x3f737871, v6
	v_fmac_f32_e32 v6, 0xbf737871, v68
	v_dual_fmac_f32 v65, 0xbf167918, v68 :: v_dual_add_f32 v88, v7, v55
	s_delay_alu instid0(VALU_DEP_3) | instskip(SKIP_1) | instid1(VALU_DEP_3)
	v_dual_add_f32 v68, v55, v61 :: v_dual_fmac_f32 v69, 0xbf167918, v70
	v_add_f32_e32 v66, v66, v59
	v_dual_sub_f32 v60, v60, v62 :: v_dual_fmac_f32 v65, 0x3e9e377a, v87
	v_fmac_f32_e32 v63, 0x3e9e377a, v87
	v_add_f32_e32 v87, v50, v54
	s_delay_alu instid0(VALU_DEP_4) | instskip(SKIP_4) | instid1(VALU_DEP_1)
	v_add_f32_e32 v67, v66, v62
	v_sub_f32_e32 v66, v59, v62
	v_sub_f32_e32 v59, v55, v56
	v_dual_sub_f32 v55, v56, v55 :: v_dual_fmac_f32 v6, 0x3f167918, v70
	v_sub_f32_e32 v70, v61, v58
	v_add_f32_e32 v59, v59, v70
	v_add_f32_e32 v90, v64, v66
	v_fma_f32 v64, -0.5, v89, v7
	v_fmac_f32_e32 v7, -0.5, v68
	s_delay_alu instid0(VALU_DEP_1) | instskip(SKIP_2) | instid1(VALU_DEP_2)
	v_fmamk_f32 v70, v57, 0xbf737871, v7
	v_dual_fmac_f32 v7, 0x3f737871, v57 :: v_dual_add_f32 v66, v88, v56
	v_sub_f32_e32 v56, v58, v61
	v_add_f32_e32 v62, v66, v58
	v_add_f32_e32 v58, v49, v52
	s_delay_alu instid0(VALU_DEP_3) | instskip(NEXT) | instid1(VALU_DEP_2)
	v_add_f32_e32 v56, v55, v56
	v_fma_f32 v55, -0.5, v58, v0
	v_sub_f32_e32 v58, v47, v53
	v_fmamk_f32 v66, v60, 0x3f737871, v64
	v_fmac_f32_e32 v64, 0xbf737871, v60
	s_delay_alu instid0(VALU_DEP_2) | instskip(NEXT) | instid1(VALU_DEP_2)
	v_fmac_f32_e32 v66, 0x3f167918, v57
	v_dual_fmac_f32 v64, 0xbf167918, v57 :: v_dual_add_f32 v57, v0, v50
	v_fma_f32 v0, -0.5, v87, v0
	s_delay_alu instid0(VALU_DEP_3) | instskip(NEXT) | instid1(VALU_DEP_3)
	v_dual_sub_f32 v87, v52, v54 :: v_dual_fmac_f32 v66, 0x3e9e377a, v59
	v_dual_fmac_f32 v64, 0x3e9e377a, v59 :: v_dual_add_f32 v59, v57, v49
	s_delay_alu instid0(VALU_DEP_1) | instskip(SKIP_1) | instid1(VALU_DEP_2)
	v_dual_add_f32 v59, v59, v52 :: v_dual_add_f32 v68, v62, v61
	v_sub_f32_e32 v61, v50, v49
	v_dual_sub_f32 v62, v54, v52 :: v_dual_add_f32 v59, v59, v54
	s_delay_alu instid0(VALU_DEP_1) | instskip(SKIP_4) | instid1(VALU_DEP_4)
	v_add_f32_e32 v61, v61, v62
	v_sub_f32_e32 v62, v49, v50
	v_dual_sub_f32 v50, v50, v54 :: v_dual_sub_f32 v49, v49, v52
	v_fmamk_f32 v57, v58, 0xbf737871, v55
	v_fmac_f32_e32 v7, 0xbf167918, v60
	v_dual_fmac_f32 v55, 0x3f737871, v58 :: v_dual_add_f32 v54, v62, v87
	v_add_f32_e32 v62, v47, v53
	v_fmac_f32_e32 v70, 0x3f167918, v60
	v_dual_sub_f32 v60, v48, v51 :: v_dual_fmac_f32 v69, 0x3e9e377a, v90
	s_delay_alu instid0(VALU_DEP_1) | instskip(SKIP_1) | instid1(VALU_DEP_2)
	v_fmac_f32_e32 v57, 0xbf167918, v60
	v_fmac_f32_e32 v55, 0x3f167918, v60
	;; [unrolled: 1-line block ×3, first 2 shown]
	s_delay_alu instid0(VALU_DEP_2) | instskip(SKIP_4) | instid1(VALU_DEP_4)
	v_fmac_f32_e32 v55, 0x3e9e377a, v61
	v_fmamk_f32 v61, v60, 0x3f737871, v0
	v_fmac_f32_e32 v0, 0xbf737871, v60
	v_add_f32_e32 v60, v1, v47
	v_dual_fmac_f32 v6, 0x3e9e377a, v90 :: v_dual_fmac_f32 v7, 0x3e9e377a, v56
	v_fmac_f32_e32 v61, 0xbf167918, v58
	s_delay_alu instid0(VALU_DEP_4) | instskip(NEXT) | instid1(VALU_DEP_4)
	v_fmac_f32_e32 v0, 0x3f167918, v58
	v_add_f32_e32 v60, v60, v48
	s_delay_alu instid0(VALU_DEP_3) | instskip(NEXT) | instid1(VALU_DEP_3)
	v_dual_fmac_f32 v70, 0x3e9e377a, v56 :: v_dual_fmac_f32 v61, 0x3e9e377a, v54
	v_fmac_f32_e32 v0, 0x3e9e377a, v54
	s_delay_alu instid0(VALU_DEP_3) | instskip(SKIP_4) | instid1(VALU_DEP_3)
	v_add_f32_e32 v52, v60, v51
	v_sub_f32_e32 v54, v47, v48
	v_sub_f32_e32 v60, v53, v51
	v_add_f32_e32 v56, v48, v51
	v_dual_sub_f32 v47, v48, v47 :: v_dual_sub_f32 v48, v51, v53
	v_add_f32_e32 v51, v54, v60
	s_delay_alu instid0(VALU_DEP_3) | instskip(SKIP_1) | instid1(VALU_DEP_4)
	v_fma_f32 v56, -0.5, v56, v1
	v_fmac_f32_e32 v1, -0.5, v62
	v_dual_add_f32 v47, v47, v48 :: v_dual_add_f32 v60, v52, v53
	s_delay_alu instid0(VALU_DEP_2) | instskip(SKIP_1) | instid1(VALU_DEP_1)
	v_fmamk_f32 v62, v49, 0xbf737871, v1
	v_fmac_f32_e32 v1, 0x3f737871, v49
	v_fmac_f32_e32 v1, 0xbf167918, v50
	s_delay_alu instid0(VALU_DEP_1) | instskip(SKIP_3) | instid1(VALU_DEP_3)
	v_fmac_f32_e32 v1, 0x3e9e377a, v47
	v_fmamk_f32 v58, v50, 0x3f737871, v56
	v_fmac_f32_e32 v56, 0xbf737871, v50
	v_fmac_f32_e32 v62, 0x3f167918, v50
	;; [unrolled: 1-line block ×3, first 2 shown]
	s_delay_alu instid0(VALU_DEP_3) | instskip(NEXT) | instid1(VALU_DEP_3)
	v_fmac_f32_e32 v56, 0xbf167918, v49
	v_fmac_f32_e32 v62, 0x3e9e377a, v47
	s_delay_alu instid0(VALU_DEP_3) | instskip(NEXT) | instid1(VALU_DEP_3)
	v_fmac_f32_e32 v58, 0x3e9e377a, v51
	v_fmac_f32_e32 v56, 0x3e9e377a, v51
	ds_store_b64 v112, v[16:17] offset:3080
	ds_store_b64 v112, v[20:21] offset:6160
	;; [unrolled: 1-line block ×4, first 2 shown]
	ds_store_2addr_b64 v112, v[8:9], v[28:29] offset1:55
	ds_store_2addr_b64 v39, v[24:25], v[32:33] offset0:184 offset1:239
	ds_store_2addr_b64 v45, v[26:27], v[36:37] offset0:57 offset1:112
	;; [unrolled: 1-line block ×5, first 2 shown]
	ds_store_b64 v112, v[79:80] offset:7480
	ds_store_b64 v112, v[14:15] offset:10560
	;; [unrolled: 1-line block ×3, first 2 shown]
	ds_store_2addr_b64 v43, v[75:76], v[81:82] offset0:38 offset1:93
	ds_store_b64 v112, v[4:5] offset:11000
	ds_store_b64 v112, v[71:72] offset:14080
	ds_store_2addr_b64 v46, v[83:84], v[67:68] offset0:92 offset1:147
	ds_store_2addr_b64 v40, v[85:86], v[69:70] offset0:94 offset1:149
	ds_store_b64 v112, v[63:64] offset:14520
	ds_store_b64 v112, v[6:7] offset:11440
	;; [unrolled: 1-line block ×3, first 2 shown]
	ds_store_2addr_b64 v43, v[65:66], v[57:58] offset0:148 offset1:203
	ds_store_b64 v112, v[61:62] offset:8800
	ds_store_b64 v112, v[0:1] offset:11880
	ds_store_b64 v112, v[55:56] offset:14960
	s_waitcnt lgkmcnt(0)
	s_barrier
	buffer_gl0_inv
	ds_load_2addr_b64 v[12:15], v112 offset1:55
	ds_load_2addr_b64 v[8:11], v46 offset0:92 offset1:147
	ds_load_2addr_b64 v[16:19], v43 offset0:38 offset1:93
	s_clause 0x2
	scratch_load_b64 v[2:3], off, off offset:324
	scratch_load_b64 v[5:6], off, off offset:276
	scratch_load_b32 v37, off, off
	s_waitcnt vmcnt(2) lgkmcnt(2)
	v_mul_f32_e32 v0, v3, v13
	v_mul_f32_e32 v1, v3, v12
	s_waitcnt vmcnt(0)
	v_mad_u64_u32 v[32:33], null, s4, v37, 0
	s_delay_alu instid0(VALU_DEP_3) | instskip(NEXT) | instid1(VALU_DEP_1)
	v_fmac_f32_e32 v0, v2, v12
	v_cvt_f64_f32_e32 v[20:21], v0
	v_fma_f32 v0, v2, v13, -v1
	s_waitcnt lgkmcnt(1)
	v_mul_f32_e32 v1, v6, v11
	v_mul_f32_e32 v2, v6, v10
	scratch_load_b64 v[6:7], off, off offset:356 ; 8-byte Folded Reload
	v_cvt_f64_f32_e32 v[22:23], v0
	v_fmac_f32_e32 v1, v5, v10
	v_fma_f32 v0, v5, v11, -v2
	s_delay_alu instid0(VALU_DEP_1) | instskip(SKIP_1) | instid1(VALU_DEP_2)
	v_cvt_f64_f32_e32 v[24:25], v0
	v_mul_f64 v[20:21], v[20:21], s[0:1]
	v_mul_f64 v[24:25], v[24:25], s[0:1]
	s_waitcnt vmcnt(0) lgkmcnt(0)
	v_mul_f32_e32 v3, v7, v17
	v_mul_f32_e32 v4, v7, v16
	s_delay_alu instid0(VALU_DEP_2) | instskip(NEXT) | instid1(VALU_DEP_2)
	v_fmac_f32_e32 v3, v6, v16
	v_fma_f32 v2, v6, v17, -v4
	v_cvt_f64_f32_e32 v[16:17], v1
	scratch_load_b64 v[0:1], off, off offset:244 ; 8-byte Folded Reload
	v_cvt_f64_f32_e32 v[26:27], v3
	v_cvt_f64_f32_e32 v[28:29], v2
	v_mul_f64 v[16:17], v[16:17], s[0:1]
	s_delay_alu instid0(VALU_DEP_3) | instskip(NEXT) | instid1(VALU_DEP_3)
	v_mul_f64 v[46:47], v[26:27], s[0:1]
	v_mul_f64 v[28:29], v[28:29], s[0:1]
	s_delay_alu instid0(VALU_DEP_3)
	v_cvt_f32_f64_e32 v16, v[16:17]
	v_cvt_f32_f64_e32 v17, v[24:25]
	s_waitcnt vmcnt(0)
	v_mov_b32_e32 v36, v0
	ds_load_2addr_b64 v[0:3], v45 offset0:2 offset1:57
	ds_load_2addr_b64 v[10:13], v41 offset0:76 offset1:131
	;; [unrolled: 1-line block ×3, first 2 shown]
	s_clause 0x2
	scratch_load_b64 v[50:51], off, off offset:340
	scratch_load_b64 v[54:55], off, off offset:332
	;; [unrolled: 1-line block ×3, first 2 shown]
	v_mad_u64_u32 v[30:31], null, s6, v36, 0
	s_clause 0x2
	scratch_load_b64 v[59:60], off, off offset:268
	scratch_load_b64 v[66:67], off, off offset:292
	;; [unrolled: 1-line block ×3, first 2 shown]
	s_mul_hi_u32 s6, s4, 0xffffce28
	s_delay_alu instid0(SALU_CYCLE_1) | instskip(SKIP_2) | instid1(VALU_DEP_2)
	s_sub_i32 s6, s6, s4
	v_mad_u64_u32 v[34:35], null, s7, v36, v[31:32]
	v_mul_f64 v[35:36], v[22:23], s[0:1]
	v_mad_u64_u32 v[22:23], null, s5, v37, v[33:34]
	v_cvt_f32_f64_e32 v37, v[28:29]
	s_delay_alu instid0(VALU_DEP_2) | instskip(NEXT) | instid1(VALU_DEP_4)
	v_mov_b32_e32 v33, v22
	v_cvt_f32_f64_e32 v35, v[35:36]
	v_cvt_f32_f64_e32 v36, v[46:47]
	s_waitcnt vmcnt(5) lgkmcnt(2)
	v_mul_f32_e32 v23, v51, v3
	s_waitcnt vmcnt(4) lgkmcnt(0)
	v_mul_f32_e32 v31, v55, v7
	s_delay_alu instid0(VALU_DEP_2)
	v_fmac_f32_e32 v23, v50, v2
	v_mul_f32_e32 v2, v51, v2
	scratch_load_b64 v[51:52], off, off offset:348 ; 8-byte Folded Reload
	v_fmac_f32_e32 v31, v54, v6
	v_mul_f32_e32 v6, v55, v6
	v_cvt_f64_f32_e32 v[48:49], v23
	v_fma_f32 v2, v50, v3, -v2
	s_waitcnt vmcnt(2)
	v_mul_f32_e32 v64, v67, v13
	v_fma_f32 v6, v54, v7, -v6
	s_delay_alu instid0(VALU_DEP_3) | instskip(NEXT) | instid1(VALU_DEP_3)
	v_cvt_f64_f32_e32 v[2:3], v2
	v_fmac_f32_e32 v64, v66, v12
	v_mul_f32_e32 v12, v67, v12
	s_delay_alu instid0(VALU_DEP_4) | instskip(NEXT) | instid1(VALU_DEP_3)
	v_cvt_f64_f32_e32 v[6:7], v6
	v_cvt_f64_f32_e32 v[64:65], v64
	s_delay_alu instid0(VALU_DEP_3)
	v_fma_f32 v12, v66, v13, -v12
	v_mul_f64 v[46:47], v[48:49], s[0:1]
	v_mul_f64 v[2:3], v[2:3], s[0:1]
	;; [unrolled: 1-line block ×3, first 2 shown]
	s_waitcnt vmcnt(0)
	v_mul_f32_e32 v27, v52, v10
	v_mul_f32_e32 v26, v52, v11
	v_cvt_f64_f32_e32 v[52:53], v31
	v_mov_b32_e32 v31, v34
	v_cvt_f32_f64_e32 v34, v[20:21]
	v_fma_f32 v23, v51, v11, -v27
	v_fmac_f32_e32 v26, v51, v10
	s_delay_alu instid0(VALU_DEP_2) | instskip(SKIP_4) | instid1(VALU_DEP_2)
	v_cvt_f64_f32_e32 v[50:51], v23
	ds_load_2addr_b64 v[20:23], v38 offset0:114 offset1:169
	v_cvt_f64_f32_e32 v[10:11], v26
	v_lshlrev_b64 v[26:27], 3, v[30:31]
	v_lshlrev_b64 v[30:31], 3, v[32:33]
	v_add_co_u32 v26, vcc_lo, s2, v26
	s_delay_alu instid0(VALU_DEP_3) | instskip(SKIP_1) | instid1(VALU_DEP_2)
	v_add_co_ci_u32_e32 v27, vcc_lo, s3, v27, vcc_lo
	s_mul_i32 s2, s5, 0x898
	v_add_co_u32 v32, vcc_lo, v26, v30
	s_delay_alu instid0(VALU_DEP_2)
	v_add_co_ci_u32_e32 v33, vcc_lo, v27, v31, vcc_lo
	ds_load_2addr_b64 v[24:27], v39 offset0:74 offset1:129
	ds_load_2addr_b64 v[28:31], v45 offset0:112 offset1:167
	s_mul_hi_u32 s3, s4, 0x898
	s_waitcnt lgkmcnt(2)
	v_mul_f32_e32 v54, v57, v21
	s_add_i32 s2, s3, s2
	s_mul_i32 s3, s4, 0x898
	s_mulk_i32 s5, 0xce28
	s_mulk_i32 s4, 0xce28
	v_fmac_f32_e32 v54, v56, v20
	v_mul_f32_e32 v20, v57, v20
	scratch_load_b64 v[57:58], off, off offset:252 ; 8-byte Folded Reload
	v_mul_f32_e32 v55, v60, v15
	s_add_i32 s5, s6, s5
	v_fma_f32 v20, v56, v21, -v20
	s_delay_alu instid0(VALU_DEP_2)
	v_fmac_f32_e32 v55, v59, v14
	v_mul_f32_e32 v14, v60, v14
	scratch_load_b64 v[60:61], off, off offset:308 ; 8-byte Folded Reload
	v_cvt_f64_f32_e32 v[20:21], v20
	v_mul_f64 v[48:49], v[50:51], s[0:1]
	v_mul_f64 v[50:51], v[52:53], s[0:1]
	v_fma_f32 v14, v59, v15, -v14
	v_mul_f64 v[10:11], v[10:11], s[0:1]
	v_cvt_f64_f32_e32 v[52:53], v54
	v_cvt_f64_f32_e32 v[54:55], v55
	s_delay_alu instid0(VALU_DEP_4) | instskip(SKIP_1) | instid1(VALU_DEP_2)
	v_cvt_f64_f32_e32 v[14:15], v14
	v_mul_f64 v[20:21], v[20:21], s[0:1]
	v_mul_f64 v[14:15], v[14:15], s[0:1]
	s_waitcnt vmcnt(1) lgkmcnt(1)
	v_mul_f32_e32 v45, v58, v25
	v_mul_f32_e32 v56, v58, v24
	s_delay_alu instid0(VALU_DEP_2) | instskip(NEXT) | instid1(VALU_DEP_2)
	v_fmac_f32_e32 v45, v57, v24
	v_fma_f32 v56, v57, v25, -v56
	s_waitcnt vmcnt(0)
	v_mul_f32_e32 v58, v61, v19
	v_mul_f32_e32 v59, v61, v18
	v_cvt_f64_f32_e32 v[24:25], v45
	s_waitcnt lgkmcnt(0)
	v_mul_f32_e32 v61, v63, v28
	v_cvt_f64_f32_e32 v[56:57], v56
	v_fmac_f32_e32 v58, v60, v18
	v_fma_f32 v45, v60, v19, -v59
	v_mul_f32_e32 v60, v63, v29
	s_delay_alu instid0(VALU_DEP_3) | instskip(NEXT) | instid1(VALU_DEP_3)
	v_cvt_f64_f32_e32 v[18:19], v58
	v_cvt_f64_f32_e32 v[58:59], v45
	s_delay_alu instid0(VALU_DEP_3)
	v_fmac_f32_e32 v60, v62, v28
	v_add_co_u32 v28, vcc_lo, v32, s3
	v_fma_f32 v45, v62, v29, -v61
	v_add_co_ci_u32_e32 v29, vcc_lo, s2, v33, vcc_lo
	s_clause 0x1
	global_store_b64 v[32:33], v[34:35], off
	global_store_b64 v[28:29], v[16:17], off
	v_cvt_f32_f64_e32 v33, v[48:49]
	v_cvt_f32_f64_e32 v16, v[46:47]
	;; [unrolled: 1-line block ×6, first 2 shown]
	v_cvt_f64_f32_e32 v[2:3], v12
	ds_load_2addr_b64 v[10:13], v44 offset0:150 offset1:205
	v_add_co_u32 v28, vcc_lo, v28, s3
	v_add_co_ci_u32_e32 v29, vcc_lo, s2, v29, vcc_lo
	v_cvt_f64_f32_e32 v[62:63], v45
	s_delay_alu instid0(VALU_DEP_3) | instskip(NEXT) | instid1(VALU_DEP_3)
	v_add_co_u32 v46, vcc_lo, v28, s3
	v_add_co_ci_u32_e32 v47, vcc_lo, s2, v29, vcc_lo
	global_store_b64 v[28:29], v[36:37], off
	v_add_co_u32 v28, vcc_lo, v46, s3
	v_add_co_ci_u32_e32 v29, vcc_lo, s2, v47, vcc_lo
	v_mul_f64 v[36:37], v[56:57], s[0:1]
	v_cvt_f64_f32_e32 v[60:61], v60
	v_mul_f64 v[6:7], v[52:53], s[0:1]
	v_mul_f64 v[44:45], v[54:55], s[0:1]
	;; [unrolled: 1-line block ×5, first 2 shown]
	scratch_load_b64 v[58:59], off, off offset:284 ; 8-byte Folded Reload
	v_mul_f64 v[24:25], v[24:25], s[0:1]
	global_store_b64 v[46:47], v[16:17], off
	v_mul_f64 v[2:3], v[2:3], s[0:1]
	v_mul_f64 v[52:53], v[62:63], s[0:1]
	;; [unrolled: 1-line block ×3, first 2 shown]
	v_cvt_f32_f64_e32 v6, v[6:7]
	v_cvt_f32_f64_e32 v7, v[20:21]
	s_waitcnt vmcnt(0) lgkmcnt(0)
	v_mul_f32_e32 v56, v59, v11
	v_mul_f32_e32 v57, v59, v10
	s_delay_alu instid0(VALU_DEP_2) | instskip(SKIP_1) | instid1(VALU_DEP_3)
	v_fmac_f32_e32 v56, v58, v10
	v_add_co_u32 v10, vcc_lo, v28, s3
	v_fma_f32 v58, v58, v11, -v57
	v_add_co_ci_u32_e32 v11, vcc_lo, s2, v29, vcc_lo
	global_store_b64 v[28:29], v[32:33], off
	global_store_b64 v[10:11], v[34:35], off
	v_cvt_f64_f32_e32 v[46:47], v58
	s_clause 0x1
	scratch_load_b64 v[58:59], off, off offset:196
	scratch_load_b64 v[63:64], off, off offset:236
	v_cvt_f64_f32_e32 v[56:57], v56
	v_cvt_f32_f64_e32 v29, v[14:15]
	ds_load_2addr_b64 v[14:17], v112 offset0:110 offset1:165
	v_cvt_f32_f64_e32 v28, v[44:45]
	v_cvt_f32_f64_e32 v45, v[48:49]
	;; [unrolled: 1-line block ×3, first 2 shown]
	s_clause 0x1
	scratch_load_b64 v[52:53], off, off offset:260
	scratch_load_b64 v[69:70], off, off offset:212
	v_cvt_f32_f64_e32 v48, v[50:51]
	v_cvt_f32_f64_e32 v51, v[2:3]
	;; [unrolled: 1-line block ×3, first 2 shown]
	ds_load_2addr_b64 v[18:21], v43 offset0:148 offset1:203
	v_cvt_f32_f64_e32 v34, v[24:25]
	v_cvt_f32_f64_e32 v50, v[54:55]
	;; [unrolled: 1-line block ×3, first 2 shown]
	v_add_co_u32 v10, vcc_lo, v10, s3
	v_add_co_ci_u32_e32 v11, vcc_lo, s2, v11, vcc_lo
	s_delay_alu instid0(VALU_DEP_2) | instskip(NEXT) | instid1(VALU_DEP_2)
	v_add_co_u32 v32, vcc_lo, v10, s4
	v_add_co_ci_u32_e32 v33, vcc_lo, s5, v11, vcc_lo
	global_store_b64 v[10:11], v[6:7], off
	v_add_co_u32 v36, vcc_lo, v32, s3
	v_add_co_ci_u32_e32 v37, vcc_lo, s2, v33, vcc_lo
	v_mul_f64 v[46:47], v[46:47], s[0:1]
	v_mul_f64 v[2:3], v[56:57], s[0:1]
	s_delay_alu instid0(VALU_DEP_1) | instskip(NEXT) | instid1(VALU_DEP_3)
	v_cvt_f32_f64_e32 v2, v[2:3]
	v_cvt_f32_f64_e32 v3, v[46:47]
	s_waitcnt vmcnt(3) lgkmcnt(1)
	v_mul_f32_e32 v56, v59, v15
	v_mul_f32_e32 v57, v59, v14
	scratch_load_b64 v[59:60], off, off offset:188 ; 8-byte Folded Reload
	v_fmac_f32_e32 v56, v58, v14
	s_waitcnt vmcnt(2)
	v_mul_f32_e32 v24, v53, v23
	s_waitcnt vmcnt(1)
	v_dual_mul_f32 v25, v53, v22 :: v_dual_mul_f32 v68, v70, v13
	s_delay_alu instid0(VALU_DEP_2) | instskip(NEXT) | instid1(VALU_DEP_2)
	v_fmac_f32_e32 v24, v52, v22
	v_fma_f32 v43, v52, v23, -v25
	s_delay_alu instid0(VALU_DEP_3) | instskip(NEXT) | instid1(VALU_DEP_3)
	v_fmac_f32_e32 v68, v69, v12
	v_cvt_f64_f32_e32 v[52:53], v24
	ds_load_2addr_b64 v[22:25], v41 offset0:186 offset1:241
	v_cvt_f64_f32_e32 v[54:55], v43
	v_fma_f32 v41, v58, v15, -v57
	v_cvt_f64_f32_e32 v[14:15], v56
	s_delay_alu instid0(VALU_DEP_2) | instskip(NEXT) | instid1(VALU_DEP_2)
	v_cvt_f64_f32_e32 v[56:57], v41
	v_mul_f64 v[14:15], v[14:15], s[0:1]
	s_waitcnt vmcnt(0)
	v_mul_f32_e32 v43, v60, v27
	v_mul_f32_e32 v58, v60, v26
	s_waitcnt lgkmcnt(1)
	s_delay_alu instid0(VALU_DEP_2) | instskip(NEXT) | instid1(VALU_DEP_2)
	v_dual_mul_f32 v60, v64, v19 :: v_dual_fmac_f32 v43, v59, v26
	v_fma_f32 v41, v59, v27, -v58
	s_delay_alu instid0(VALU_DEP_2)
	v_fmac_f32_e32 v60, v63, v18
	v_mul_f32_e32 v18, v64, v18
	scratch_load_b64 v[64:65], off, off offset:220 ; 8-byte Folded Reload
	v_cvt_f64_f32_e32 v[26:27], v43
	v_cvt_f64_f32_e32 v[58:59], v41
	v_cvt_f64_f32_e32 v[60:61], v60
	v_fma_f32 v18, v63, v19, -v18
	s_delay_alu instid0(VALU_DEP_1) | instskip(NEXT) | instid1(VALU_DEP_1)
	v_cvt_f64_f32_e32 v[18:19], v18
	v_mul_f64 v[18:19], v[18:19], s[0:1]
	s_waitcnt vmcnt(0)
	v_mul_f32_e32 v62, v65, v31
	s_delay_alu instid0(VALU_DEP_1)
	v_fmac_f32_e32 v62, v64, v30
	v_mul_f32_e32 v30, v65, v30
	scratch_load_b64 v[65:66], off, off offset:228 ; 8-byte Folded Reload
	v_cvt_f64_f32_e32 v[62:63], v62
	v_fma_f32 v30, v64, v31, -v30
	s_waitcnt vmcnt(0) lgkmcnt(0)
	v_mul_f32_e32 v41, v66, v23
	v_mul_f32_e32 v43, v66, v22
	s_delay_alu instid0(VALU_DEP_2) | instskip(NEXT) | instid1(VALU_DEP_2)
	v_dual_mul_f32 v66, v70, v12 :: v_dual_fmac_f32 v41, v65, v22
	v_fma_f32 v43, v65, v23, -v43
	s_delay_alu instid0(VALU_DEP_2) | instskip(SKIP_3) | instid1(VALU_DEP_3)
	v_fma_f32 v12, v69, v13, -v66
	v_add_co_u32 v66, vcc_lo, v36, s3
	v_add_co_ci_u32_e32 v67, vcc_lo, s2, v37, vcc_lo
	v_cvt_f64_f32_e32 v[22:23], v30
	v_add_co_u32 v6, vcc_lo, v66, s3
	s_delay_alu instid0(VALU_DEP_3) | instskip(SKIP_1) | instid1(VALU_DEP_3)
	v_add_co_ci_u32_e32 v7, vcc_lo, s2, v67, vcc_lo
	v_cvt_f64_f32_e32 v[30:31], v41
	v_add_co_u32 v41, vcc_lo, v6, s3
	v_cvt_f64_f32_e32 v[70:71], v12
	ds_load_2addr_b64 v[10:13], v42 offset0:96 offset1:151
	v_add_co_ci_u32_e32 v42, vcc_lo, s2, v7, vcc_lo
	global_store_b64 v[32:33], v[28:29], off
	global_store_b64 v[36:37], v[34:35], off
	;; [unrolled: 1-line block ×5, first 2 shown]
	v_mul_f64 v[6:7], v[52:53], s[0:1]
	v_mul_f64 v[47:48], v[62:63], s[0:1]
	s_clause 0x1
	scratch_load_b64 v[52:53], off, off offset:204
	scratch_load_b64 v[62:63], off, off offset:132
	v_cvt_f64_f32_e32 v[64:65], v43
	v_mul_f64 v[34:35], v[56:57], s[0:1]
	v_mul_f64 v[36:37], v[26:27], s[0:1]
	ds_load_2addr_b64 v[26:29], v39 offset0:184 offset1:239
	v_mul_f64 v[32:33], v[54:55], s[0:1]
	v_mul_f64 v[43:44], v[58:59], s[0:1]
	v_cvt_f64_f32_e32 v[68:69], v68
	v_mul_f64 v[45:46], v[60:61], s[0:1]
	v_add_co_u32 v41, vcc_lo, v41, s3
	v_add_co_ci_u32_e32 v42, vcc_lo, s2, v42, vcc_lo
	global_store_b64 v[41:42], v[2:3], off
	v_mul_f64 v[22:23], v[22:23], s[0:1]
	v_mul_f64 v[30:31], v[30:31], s[0:1]
	v_cvt_f32_f64_e32 v6, v[6:7]
	v_mul_f64 v[49:50], v[64:65], s[0:1]
	v_cvt_f32_f64_e32 v7, v[32:33]
	v_add_co_u32 v32, vcc_lo, v41, s3
	v_add_co_ci_u32_e32 v33, vcc_lo, s2, v42, vcc_lo
	global_store_b64 v[32:33], v[6:7], off
	s_waitcnt vmcnt(1) lgkmcnt(1)
	v_mul_f32_e32 v39, v53, v11
	s_waitcnt vmcnt(0)
	v_mul_f32_e32 v57, v63, v17
	v_mul_f32_e32 v51, v53, v10
	s_delay_alu instid0(VALU_DEP_3) | instskip(NEXT) | instid1(VALU_DEP_3)
	v_fmac_f32_e32 v39, v52, v10
	v_fmac_f32_e32 v57, v62, v16
	v_mul_f32_e32 v16, v63, v16
	scratch_load_b64 v[63:64], off, off offset:156 ; 8-byte Folded Reload
	v_fma_f32 v55, v52, v11, -v51
	v_cvt_f64_f32_e32 v[53:54], v39
	v_mul_f64 v[10:11], v[68:69], s[0:1]
	v_mul_f64 v[51:52], v[70:71], s[0:1]
	v_cvt_f64_f32_e32 v[57:58], v57
	v_fma_f32 v16, v62, v17, -v16
	v_cvt_f64_f32_e32 v[55:56], v55
	s_delay_alu instid0(VALU_DEP_2)
	v_cvt_f64_f32_e32 v[16:17], v16
	v_cvt_f32_f64_e32 v10, v[10:11]
	v_cvt_f32_f64_e32 v11, v[51:52]
	v_mul_f64 v[41:42], v[57:58], s[0:1]
	s_waitcnt vmcnt(0) lgkmcnt(0)
	v_mul_f32_e32 v39, v64, v27
	v_mul_f32_e32 v59, v64, v26
	scratch_load_b64 v[64:65], off, off offset:172 ; 8-byte Folded Reload
	v_fmac_f32_e32 v39, v63, v26
	v_fma_f32 v26, v63, v27, -v59
	v_cvt_f32_f64_e32 v63, v[14:15]
	s_delay_alu instid0(VALU_DEP_2) | instskip(NEXT) | instid1(VALU_DEP_1)
	v_cvt_f64_f32_e32 v[26:27], v26
	v_mul_f64 v[26:27], v[26:27], s[0:1]
	s_waitcnt vmcnt(0)
	v_mul_f32_e32 v60, v65, v21
	v_mul_f32_e32 v61, v65, v20
	s_delay_alu instid0(VALU_DEP_2) | instskip(NEXT) | instid1(VALU_DEP_2)
	v_fmac_f32_e32 v60, v64, v20
	v_fma_f32 v61, v64, v21, -v61
	v_cvt_f64_f32_e32 v[20:21], v39
	v_cvt_f32_f64_e32 v64, v[34:35]
	v_cvt_f32_f64_e32 v34, v[36:37]
	;; [unrolled: 1-line block ×9, first 2 shown]
	v_add_co_u32 v43, vcc_lo, v32, s4
	v_add_co_ci_u32_e32 v44, vcc_lo, s5, v33, vcc_lo
	v_mul_f64 v[47:48], v[16:17], s[0:1]
	s_delay_alu instid0(VALU_DEP_3) | instskip(NEXT) | instid1(VALU_DEP_3)
	v_add_co_u32 v2, vcc_lo, v43, s3
	v_add_co_ci_u32_e32 v3, vcc_lo, s2, v44, vcc_lo
	ds_load_2addr_b64 v[14:17], v40 offset0:94 offset1:149
	v_mul_f64 v[30:31], v[53:54], s[0:1]
	v_cvt_f64_f32_e32 v[61:62], v61
	v_mul_f64 v[45:46], v[55:56], s[0:1]
	v_cvt_f64_f32_e32 v[59:60], v60
	v_mul_f64 v[49:50], v[20:21], s[0:1]
	v_add_co_u32 v20, vcc_lo, v2, s3
	v_add_co_ci_u32_e32 v21, vcc_lo, s2, v3, vcc_lo
	global_store_b64 v[43:44], v[63:64], off
	v_add_co_u32 v6, vcc_lo, v20, s3
	v_add_co_ci_u32_e32 v7, vcc_lo, s2, v21, vcc_lo
	s_delay_alu instid0(VALU_DEP_2) | instskip(NEXT) | instid1(VALU_DEP_2)
	v_add_co_u32 v32, vcc_lo, v6, s3
	v_add_co_ci_u32_e32 v33, vcc_lo, s2, v7, vcc_lo
	s_delay_alu instid0(VALU_DEP_2) | instskip(NEXT) | instid1(VALU_DEP_2)
	v_add_co_u32 v39, vcc_lo, v32, s3
	v_add_co_ci_u32_e32 v40, vcc_lo, s2, v33, vcc_lo
	global_store_b64 v[2:3], v[34:35], off
	global_store_b64 v[20:21], v[36:37], off
	global_store_b64 v[6:7], v[18:19], off
	global_store_b64 v[32:33], v[22:23], off
	global_store_b64 v[39:40], v[10:11], off
	scratch_load_b64 v[32:33], off, off offset:100 ; 8-byte Folded Reload
	ds_load_2addr_b64 v[18:21], v38 offset0:4 offset1:59
	v_cvt_f32_f64_e32 v10, v[41:42]
	scratch_load_b64 v[41:42], off, off offset:76 ; 8-byte Folded Reload
	v_cvt_f32_f64_e32 v2, v[30:31]
	v_add_co_u32 v6, vcc_lo, v39, s3
	v_mul_f64 v[53:54], v[61:62], s[0:1]
	v_mul_f64 v[51:52], v[59:60], s[0:1]
	v_cvt_f32_f64_e32 v3, v[45:46]
	v_add_co_ci_u32_e32 v7, vcc_lo, s2, v40, vcc_lo
	v_cvt_f32_f64_e32 v11, v[47:48]
	v_cvt_f32_f64_e32 v23, v[26:27]
	v_cvt_f32_f64_e32 v22, v[49:50]
	s_clause 0x1
	scratch_load_b64 v[49:50], off, off offset:116
	scratch_load_b64 v[37:38], off, off offset:84
	s_waitcnt vmcnt(3) lgkmcnt(1)
	v_mul_f32_e32 v30, v33, v15
	s_waitcnt vmcnt(2)
	v_dual_mul_f32 v31, v33, v14 :: v_dual_mul_f32 v36, v42, v13
	s_delay_alu instid0(VALU_DEP_2) | instskip(NEXT) | instid1(VALU_DEP_2)
	v_fmac_f32_e32 v30, v32, v14
	v_fma_f32 v31, v32, v15, -v31
	v_cvt_f32_f64_e32 v15, v[53:54]
	s_delay_alu instid0(VALU_DEP_4)
	v_fmac_f32_e32 v36, v41, v12
	v_mul_f32_e32 v12, v42, v12
	s_clause 0x1
	scratch_load_b64 v[42:43], off, off offset:164
	scratch_load_b64 v[54:55], off, off offset:108
	v_cvt_f32_f64_e32 v14, v[51:52]
	v_cvt_f64_f32_e32 v[26:27], v30
	v_fma_f32 v12, v41, v13, -v12
	v_cvt_f64_f32_e32 v[30:31], v31
	s_waitcnt vmcnt(3)
	v_mul_f32_e32 v45, v50, v0
	s_waitcnt vmcnt(2)
	v_mul_f32_e32 v32, v38, v25
	v_mul_f32_e32 v33, v38, v24
	scratch_load_b64 v[38:39], off, off offset:92 ; 8-byte Folded Reload
	v_fma_f32 v45, v49, v1, -v45
	v_fmac_f32_e32 v32, v37, v24
	v_fma_f32 v24, v37, v25, -v33
	v_cvt_f64_f32_e32 v[36:37], v36
	s_delay_alu instid0(VALU_DEP_2) | instskip(SKIP_2) | instid1(VALU_DEP_4)
	v_cvt_f64_f32_e32 v[24:25], v24
	v_mul_f64 v[26:27], v[26:27], s[0:1]
	v_mul_f64 v[30:31], v[30:31], s[0:1]
	;; [unrolled: 1-line block ×3, first 2 shown]
	s_delay_alu instid0(VALU_DEP_4) | instskip(NEXT) | instid1(VALU_DEP_4)
	v_mul_f64 v[24:25], v[24:25], s[0:1]
	v_cvt_f32_f64_e32 v26, v[26:27]
	s_delay_alu instid0(VALU_DEP_4) | instskip(NEXT) | instid1(VALU_DEP_4)
	v_cvt_f32_f64_e32 v27, v[30:31]
	v_cvt_f32_f64_e32 v36, v[36:37]
	s_waitcnt vmcnt(1)
	v_mul_f32_e32 v48, v55, v5
	s_delay_alu instid0(VALU_DEP_1)
	v_fmac_f32_e32 v48, v54, v4
	v_mul_f32_e32 v4, v55, v4
	scratch_load_b64 v[55:56], off, off offset:140 ; 8-byte Folded Reload
	s_waitcnt vmcnt(1) lgkmcnt(0)
	v_mul_f32_e32 v34, v39, v19
	v_mul_f32_e32 v35, v39, v18
	;; [unrolled: 1-line block ×3, first 2 shown]
	v_fma_f32 v4, v54, v5, -v4
	v_add_co_u32 v54, vcc_lo, v6, s4
	v_fmac_f32_e32 v34, v38, v18
	v_fma_f32 v35, v38, v19, -v35
	v_mul_f32_e32 v38, v43, v9
	scratch_load_b64 v[43:44], off, off offset:180 ; 8-byte Folded Reload
	v_fma_f32 v39, v42, v9, -v39
	v_cvt_f64_f32_e32 v[18:19], v32
	v_cvt_f64_f32_e32 v[32:33], v34
	v_fmac_f32_e32 v38, v42, v8
	v_cvt_f64_f32_e32 v[8:9], v12
	v_cvt_f64_f32_e32 v[34:35], v35
	;; [unrolled: 1-line block ×3, first 2 shown]
	v_mul_f64 v[18:19], v[18:19], s[0:1]
	v_mul_f64 v[32:33], v[32:33], s[0:1]
	;; [unrolled: 1-line block ×5, first 2 shown]
	v_cvt_f32_f64_e32 v18, v[18:19]
	v_cvt_f32_f64_e32 v19, v[24:25]
	;; [unrolled: 1-line block ×5, first 2 shown]
	s_waitcnt vmcnt(0)
	v_mul_f32_e32 v40, v44, v29
	v_dual_mul_f32 v13, v44, v28 :: v_dual_mul_f32 v44, v50, v1
	scratch_load_b64 v[50:51], off, off offset:124 ; 8-byte Folded Reload
	v_fmac_f32_e32 v40, v43, v28
	v_fma_f32 v42, v43, v29, -v13
	v_cvt_f64_f32_e32 v[12:13], v38
	v_cvt_f64_f32_e32 v[28:29], v39
	v_fmac_f32_e32 v44, v49, v0
	v_cvt_f64_f32_e32 v[38:39], v40
	ds_load_b64 v[40:41], v112 offset:14960
	v_cvt_f64_f32_e32 v[42:43], v42
	v_cvt_f64_f32_e32 v[48:49], v48
	;; [unrolled: 1-line block ×3, first 2 shown]
	v_mul_f64 v[12:13], v[12:13], s[0:1]
	v_mul_f64 v[28:29], v[28:29], s[0:1]
	s_delay_alu instid0(VALU_DEP_3) | instskip(NEXT) | instid1(VALU_DEP_3)
	v_mul_f64 v[0:1], v[0:1], s[0:1]
	v_cvt_f32_f64_e32 v8, v[12:13]
	s_delay_alu instid0(VALU_DEP_3) | instskip(NEXT) | instid1(VALU_DEP_3)
	v_cvt_f32_f64_e32 v9, v[28:29]
	v_cvt_f32_f64_e32 v0, v[0:1]
	s_waitcnt vmcnt(0)
	v_mul_f32_e32 v46, v51, v17
	v_mul_f32_e32 v47, v51, v16
	;; [unrolled: 1-line block ×3, first 2 shown]
	s_delay_alu instid0(VALU_DEP_3) | instskip(NEXT) | instid1(VALU_DEP_3)
	v_fmac_f32_e32 v46, v50, v16
	v_fma_f32 v47, v50, v17, -v47
	v_mul_f32_e32 v50, v56, v21
	scratch_load_b64 v[56:57], off, off offset:148 ; 8-byte Folded Reload
	v_fma_f32 v51, v55, v21, -v51
	v_cvt_f64_f32_e32 v[16:17], v45
	v_cvt_f64_f32_e32 v[44:45], v46
	v_fmac_f32_e32 v50, v55, v20
	v_cvt_f64_f32_e32 v[46:47], v47
	v_add_co_ci_u32_e32 v55, vcc_lo, s5, v7, vcc_lo
	s_delay_alu instid0(VALU_DEP_3) | instskip(NEXT) | instid1(VALU_DEP_1)
	v_cvt_f64_f32_e32 v[20:21], v50
	v_mul_f64 v[20:21], v[20:21], s[0:1]
	s_waitcnt vmcnt(0) lgkmcnt(0)
	v_mul_f32_e32 v52, v57, v41
	v_mul_f32_e32 v53, v57, v40
	s_delay_alu instid0(VALU_DEP_2) | instskip(NEXT) | instid1(VALU_DEP_2)
	v_fmac_f32_e32 v52, v56, v40
	v_fma_f32 v53, v56, v41, -v53
	v_cvt_f64_f32_e32 v[40:41], v51
	v_add_co_u32 v56, vcc_lo, v54, s3
	s_delay_alu instid0(VALU_DEP_4) | instskip(NEXT) | instid1(VALU_DEP_4)
	v_cvt_f64_f32_e32 v[50:51], v52
	v_cvt_f64_f32_e32 v[52:53], v53
	v_add_co_ci_u32_e32 v57, vcc_lo, s2, v55, vcc_lo
	s_delay_alu instid0(VALU_DEP_4) | instskip(NEXT) | instid1(VALU_DEP_2)
	v_add_co_u32 v58, vcc_lo, v56, s3
	v_add_co_ci_u32_e32 v59, vcc_lo, s2, v57, vcc_lo
	global_store_b64 v[6:7], v[2:3], off
	global_store_b64 v[54:55], v[10:11], off
	;; [unrolled: 1-line block ×4, first 2 shown]
	v_mul_f64 v[2:3], v[38:39], s[0:1]
	v_mul_f64 v[6:7], v[42:43], s[0:1]
	;; [unrolled: 1-line block ×6, first 2 shown]
	v_add_co_u32 v30, vcc_lo, v58, s3
	v_add_co_ci_u32_e32 v31, vcc_lo, s2, v59, vcc_lo
	s_delay_alu instid0(VALU_DEP_2) | instskip(NEXT) | instid1(VALU_DEP_2)
	v_add_co_u32 v24, vcc_lo, v30, s3
	v_add_co_ci_u32_e32 v25, vcc_lo, s2, v31, vcc_lo
	global_store_b64 v[30:31], v[26:27], off
	v_add_co_u32 v34, vcc_lo, v24, s3
	v_add_co_ci_u32_e32 v35, vcc_lo, s2, v25, vcc_lo
	global_store_b64 v[24:25], v[18:19], off
	v_add_co_u32 v12, vcc_lo, v34, s3
	v_add_co_ci_u32_e32 v13, vcc_lo, s2, v35, vcc_lo
	v_mul_f64 v[38:39], v[40:41], s[0:1]
	global_store_b64 v[34:35], v[32:33], off
	v_mul_f64 v[40:41], v[50:51], s[0:1]
	v_mul_f64 v[42:43], v[52:53], s[0:1]
	global_store_b64 v[12:13], v[36:37], off
	v_cvt_f32_f64_e32 v2, v[2:3]
	v_cvt_f32_f64_e32 v3, v[6:7]
	;; [unrolled: 1-line block ×8, first 2 shown]
	v_add_co_u32 v16, vcc_lo, v12, s4
	v_add_co_ci_u32_e32 v17, vcc_lo, s5, v13, vcc_lo
	s_delay_alu instid0(VALU_DEP_2) | instskip(NEXT) | instid1(VALU_DEP_2)
	v_add_co_u32 v20, vcc_lo, v16, s3
	v_add_co_ci_u32_e32 v21, vcc_lo, s2, v17, vcc_lo
	global_store_b64 v[16:17], v[8:9], off
	v_add_co_u32 v18, vcc_lo, v20, s3
	v_add_co_ci_u32_e32 v19, vcc_lo, s2, v21, vcc_lo
	s_delay_alu instid0(VALU_DEP_2) | instskip(SKIP_1) | instid1(VALU_DEP_3)
	v_add_co_u32 v22, vcc_lo, v18, s3
	v_cvt_f32_f64_e32 v5, v[38:39]
	v_add_co_ci_u32_e32 v23, vcc_lo, s2, v19, vcc_lo
	v_cvt_f32_f64_e32 v14, v[40:41]
	v_cvt_f32_f64_e32 v15, v[42:43]
	v_add_co_u32 v12, vcc_lo, v22, s3
	s_delay_alu instid0(VALU_DEP_4) | instskip(NEXT) | instid1(VALU_DEP_2)
	v_add_co_ci_u32_e32 v13, vcc_lo, s2, v23, vcc_lo
	v_add_co_u32 v8, vcc_lo, v12, s3
	s_delay_alu instid0(VALU_DEP_2)
	v_add_co_ci_u32_e32 v9, vcc_lo, s2, v13, vcc_lo
	global_store_b64 v[20:21], v[2:3], off
	v_add_co_u32 v2, vcc_lo, v8, s3
	v_add_co_ci_u32_e32 v3, vcc_lo, s2, v9, vcc_lo
	global_store_b64 v[18:19], v[0:1], off
	global_store_b64 v[22:23], v[6:7], off
	;; [unrolled: 1-line block ×5, first 2 shown]
.LBB0_10:
	s_nop 0
	s_sendmsg sendmsg(MSG_DEALLOC_VGPRS)
	s_endpgm
	.section	.rodata,"a",@progbits
	.p2align	6, 0x0
	.amdhsa_kernel bluestein_single_back_len1925_dim1_sp_op_CI_CI
		.amdhsa_group_segment_fixed_size 15400
		.amdhsa_private_segment_fixed_size 576
		.amdhsa_kernarg_size 104
		.amdhsa_user_sgpr_count 15
		.amdhsa_user_sgpr_dispatch_ptr 0
		.amdhsa_user_sgpr_queue_ptr 0
		.amdhsa_user_sgpr_kernarg_segment_ptr 1
		.amdhsa_user_sgpr_dispatch_id 0
		.amdhsa_user_sgpr_private_segment_size 0
		.amdhsa_wavefront_size32 1
		.amdhsa_uses_dynamic_stack 0
		.amdhsa_enable_private_segment 1
		.amdhsa_system_sgpr_workgroup_id_x 1
		.amdhsa_system_sgpr_workgroup_id_y 0
		.amdhsa_system_sgpr_workgroup_id_z 0
		.amdhsa_system_sgpr_workgroup_info 0
		.amdhsa_system_vgpr_workitem_id 0
		.amdhsa_next_free_vgpr 256
		.amdhsa_next_free_sgpr 20
		.amdhsa_reserve_vcc 1
		.amdhsa_float_round_mode_32 0
		.amdhsa_float_round_mode_16_64 0
		.amdhsa_float_denorm_mode_32 3
		.amdhsa_float_denorm_mode_16_64 3
		.amdhsa_dx10_clamp 1
		.amdhsa_ieee_mode 1
		.amdhsa_fp16_overflow 0
		.amdhsa_workgroup_processor_mode 1
		.amdhsa_memory_ordered 1
		.amdhsa_forward_progress 0
		.amdhsa_shared_vgpr_count 0
		.amdhsa_exception_fp_ieee_invalid_op 0
		.amdhsa_exception_fp_denorm_src 0
		.amdhsa_exception_fp_ieee_div_zero 0
		.amdhsa_exception_fp_ieee_overflow 0
		.amdhsa_exception_fp_ieee_underflow 0
		.amdhsa_exception_fp_ieee_inexact 0
		.amdhsa_exception_int_div_zero 0
	.end_amdhsa_kernel
	.text
.Lfunc_end0:
	.size	bluestein_single_back_len1925_dim1_sp_op_CI_CI, .Lfunc_end0-bluestein_single_back_len1925_dim1_sp_op_CI_CI
                                        ; -- End function
	.section	.AMDGPU.csdata,"",@progbits
; Kernel info:
; codeLenInByte = 50816
; NumSgprs: 22
; NumVgprs: 256
; ScratchSize: 576
; MemoryBound: 0
; FloatMode: 240
; IeeeMode: 1
; LDSByteSize: 15400 bytes/workgroup (compile time only)
; SGPRBlocks: 2
; VGPRBlocks: 31
; NumSGPRsForWavesPerEU: 22
; NumVGPRsForWavesPerEU: 256
; Occupancy: 4
; WaveLimiterHint : 1
; COMPUTE_PGM_RSRC2:SCRATCH_EN: 1
; COMPUTE_PGM_RSRC2:USER_SGPR: 15
; COMPUTE_PGM_RSRC2:TRAP_HANDLER: 0
; COMPUTE_PGM_RSRC2:TGID_X_EN: 1
; COMPUTE_PGM_RSRC2:TGID_Y_EN: 0
; COMPUTE_PGM_RSRC2:TGID_Z_EN: 0
; COMPUTE_PGM_RSRC2:TIDIG_COMP_CNT: 0
	.text
	.p2alignl 7, 3214868480
	.fill 96, 4, 3214868480
	.type	__hip_cuid_5800e51654888356,@object ; @__hip_cuid_5800e51654888356
	.section	.bss,"aw",@nobits
	.globl	__hip_cuid_5800e51654888356
__hip_cuid_5800e51654888356:
	.byte	0                               ; 0x0
	.size	__hip_cuid_5800e51654888356, 1

	.ident	"AMD clang version 19.0.0git (https://github.com/RadeonOpenCompute/llvm-project roc-6.4.0 25133 c7fe45cf4b819c5991fe208aaa96edf142730f1d)"
	.section	".note.GNU-stack","",@progbits
	.addrsig
	.addrsig_sym __hip_cuid_5800e51654888356
	.amdgpu_metadata
---
amdhsa.kernels:
  - .args:
      - .actual_access:  read_only
        .address_space:  global
        .offset:         0
        .size:           8
        .value_kind:     global_buffer
      - .actual_access:  read_only
        .address_space:  global
        .offset:         8
        .size:           8
        .value_kind:     global_buffer
      - .actual_access:  read_only
        .address_space:  global
        .offset:         16
        .size:           8
        .value_kind:     global_buffer
      - .actual_access:  read_only
        .address_space:  global
        .offset:         24
        .size:           8
        .value_kind:     global_buffer
      - .actual_access:  read_only
        .address_space:  global
        .offset:         32
        .size:           8
        .value_kind:     global_buffer
      - .offset:         40
        .size:           8
        .value_kind:     by_value
      - .address_space:  global
        .offset:         48
        .size:           8
        .value_kind:     global_buffer
      - .address_space:  global
        .offset:         56
        .size:           8
        .value_kind:     global_buffer
      - .address_space:  global
        .offset:         64
        .size:           8
        .value_kind:     global_buffer
      - .address_space:  global
        .offset:         72
        .size:           8
        .value_kind:     global_buffer
      - .offset:         80
        .size:           4
        .value_kind:     by_value
      - .address_space:  global
        .offset:         88
        .size:           8
        .value_kind:     global_buffer
      - .address_space:  global
        .offset:         96
        .size:           8
        .value_kind:     global_buffer
    .group_segment_fixed_size: 15400
    .kernarg_segment_align: 8
    .kernarg_segment_size: 104
    .language:       OpenCL C
    .language_version:
      - 2
      - 0
    .max_flat_workgroup_size: 55
    .name:           bluestein_single_back_len1925_dim1_sp_op_CI_CI
    .private_segment_fixed_size: 576
    .sgpr_count:     22
    .sgpr_spill_count: 0
    .symbol:         bluestein_single_back_len1925_dim1_sp_op_CI_CI.kd
    .uniform_work_group_size: 1
    .uses_dynamic_stack: false
    .vgpr_count:     256
    .vgpr_spill_count: 162
    .wavefront_size: 32
    .workgroup_processor_mode: 1
amdhsa.target:   amdgcn-amd-amdhsa--gfx1100
amdhsa.version:
  - 1
  - 2
...

	.end_amdgpu_metadata
